;; amdgpu-corpus repo=ROCm/rocFFT kind=compiled arch=gfx1030 opt=O3
	.text
	.amdgcn_target "amdgcn-amd-amdhsa--gfx1030"
	.amdhsa_code_object_version 6
	.protected	bluestein_single_fwd_len1800_dim1_dp_op_CI_CI ; -- Begin function bluestein_single_fwd_len1800_dim1_dp_op_CI_CI
	.globl	bluestein_single_fwd_len1800_dim1_dp_op_CI_CI
	.p2align	8
	.type	bluestein_single_fwd_len1800_dim1_dp_op_CI_CI,@function
bluestein_single_fwd_len1800_dim1_dp_op_CI_CI: ; @bluestein_single_fwd_len1800_dim1_dp_op_CI_CI
; %bb.0:
	s_load_dwordx4 s[12:15], s[4:5], 0x28
	v_mul_u32_u24_e32 v1, 0x16d, v0
	v_mov_b32_e32 v197, 0
	s_mov_b32 s0, exec_lo
	v_lshrrev_b32_e32 v1, 16, v1
	v_add_nc_u32_e32 v196, s6, v1
	s_waitcnt lgkmcnt(0)
	v_cmpx_gt_u64_e64 s[12:13], v[196:197]
	s_cbranch_execz .LBB0_18
; %bb.1:
	s_clause 0x1
	s_load_dwordx4 s[8:11], s[4:5], 0x18
	s_load_dwordx4 s[0:3], s[4:5], 0x0
	v_mul_lo_u16 v1, 0xb4, v1
	s_mov_b32 s12, 0x4755a5e
	s_mov_b32 s13, 0x3fe2cf23
	s_load_dwordx2 s[4:5], s[4:5], 0x38
	v_sub_nc_u16 v40, v0, v1
	v_and_b32_e32 v197, 0xffff, v40
	v_lshlrev_b32_e32 v198, 4, v197
	s_waitcnt lgkmcnt(0)
	s_load_dwordx4 s[16:19], s[8:9], 0x0
	v_add_co_u32 v202, s6, s0, v198
	v_add_co_ci_u32_e64 v203, null, s1, 0, s6
	global_load_dwordx4 v[0:3], v198, s[0:1]
	v_add_co_u32 v4, vcc_lo, 0x800, v202
	v_add_co_ci_u32_e32 v5, vcc_lo, 0, v203, vcc_lo
	v_add_co_u32 v6, vcc_lo, 0x1000, v202
	v_add_co_ci_u32_e32 v7, vcc_lo, 0, v203, vcc_lo
	;; [unrolled: 2-line block ×3, first 2 shown]
	v_add_co_u32 v10, vcc_lo, 0x2800, v202
	s_waitcnt lgkmcnt(0)
	v_mad_u64_u32 v[24:25], null, s16, v197, 0
	v_mad_u64_u32 v[14:15], null, s18, v196, 0
	v_add_co_ci_u32_e32 v11, vcc_lo, 0, v203, vcc_lo
	v_add_co_u32 v12, vcc_lo, 0x3800, v202
	v_mov_b32_e32 v16, v25
	v_add_co_ci_u32_e32 v13, vcc_lo, 0, v203, vcc_lo
	v_add_co_u32 v26, vcc_lo, 0x4000, v202
	v_mad_u64_u32 v[17:18], null, s19, v196, v[15:16]
	v_add_co_ci_u32_e32 v27, vcc_lo, 0, v203, vcc_lo
	v_add_co_u32 v28, vcc_lo, 0x4800, v202
	v_add_co_ci_u32_e32 v29, vcc_lo, 0, v203, vcc_lo
	v_mad_u64_u32 v[32:33], null, s17, v197, v[16:17]
	v_mov_b32_e32 v15, v17
	v_add_co_u32 v30, vcc_lo, 0x5800, v202
	v_add_co_ci_u32_e32 v31, vcc_lo, 0, v203, vcc_lo
	v_lshlrev_b64 v[14:15], 4, v[14:15]
	v_mov_b32_e32 v25, v32
	v_add_co_u32 v33, vcc_lo, 0x6000, v202
	v_add_co_ci_u32_e32 v34, vcc_lo, 0, v203, vcc_lo
	s_clause 0x4
	global_load_dwordx4 v[36:39], v[4:5], off offset:832
	global_load_dwordx4 v[20:23], v[6:7], off offset:1664
	;; [unrolled: 1-line block ×5, first 2 shown]
	v_lshlrev_b64 v[12:13], 4, v[24:25]
	v_add_co_u32 v14, vcc_lo, s14, v14
	v_add_co_ci_u32_e32 v15, vcc_lo, s15, v15, vcc_lo
	s_mul_i32 s0, s17, 0xb40
	v_add_co_u32 v24, vcc_lo, v14, v12
	v_add_co_ci_u32_e32 v25, vcc_lo, v15, v13, vcc_lo
	s_mul_hi_u32 s1, s16, 0xb40
	s_mul_i32 s6, s16, 0xb40
	s_add_i32 s1, s1, s0
	v_add_co_u32 v45, vcc_lo, v24, s6
	v_add_co_ci_u32_e32 v46, vcc_lo, s1, v25, vcc_lo
	global_load_dwordx4 v[12:15], v[26:27], off offset:896
	v_add_co_u32 v26, vcc_lo, v45, s6
	v_add_co_ci_u32_e32 v27, vcc_lo, s1, v46, vcc_lo
	s_clause 0x1
	global_load_dwordx4 v[41:44], v[24:25], off
	global_load_dwordx4 v[45:48], v[45:46], off
	v_add_co_u32 v24, vcc_lo, v26, s6
	v_add_co_ci_u32_e32 v25, vcc_lo, s1, v27, vcc_lo
	global_load_dwordx4 v[49:52], v[26:27], off
	s_mov_b32 s15, 0xbfee6f0e
	s_mov_b32 s17, 0xbfe2cf23
	global_load_dwordx4 v[53:56], v[24:25], off
	v_add_co_u32 v26, vcc_lo, v24, s6
	v_add_co_ci_u32_e32 v27, vcc_lo, s1, v25, vcc_lo
	s_mov_b32 s16, s12
	v_add_co_u32 v24, vcc_lo, v26, s6
	v_add_co_ci_u32_e32 v25, vcc_lo, s1, v27, vcc_lo
	global_load_dwordx4 v[57:60], v[26:27], off
	v_add_co_u32 v26, vcc_lo, v24, s6
	v_add_co_ci_u32_e32 v27, vcc_lo, s1, v25, vcc_lo
	global_load_dwordx4 v[61:64], v[24:25], off
	;; [unrolled: 3-line block ×4, first 2 shown]
	v_add_co_u32 v77, vcc_lo, v73, s6
	v_add_co_ci_u32_e32 v78, vcc_lo, s1, v74, vcc_lo
	global_load_dwordx4 v[24:27], v[28:29], off offset:1728
	global_load_dwordx4 v[73:76], v[73:74], off
	s_clause 0x1
	global_load_dwordx4 v[28:31], v[30:31], off offset:512
	global_load_dwordx4 v[32:35], v[33:34], off offset:1344
	global_load_dwordx4 v[77:80], v[77:78], off
	s_load_dwordx4 s[8:11], s[10:11], 0x0
	s_mov_b32 s0, 0x134454ff
	s_mov_b32 s1, 0x3fee6f0e
	s_mov_b32 s14, s0
	s_mov_b32 s6, 0x372fe950
	s_mov_b32 s7, 0x3fd3c6ef
	s_mov_b32 s18, 0x9b97f4a8
	s_mov_b32 s19, 0x3fe9e377
	v_cmp_gt_u16_e32 vcc_lo, 0x78, v40
	s_waitcnt vmcnt(12)
	v_mul_f64 v[81:82], v[43:44], v[2:3]
	v_mul_f64 v[83:84], v[41:42], v[2:3]
	s_waitcnt vmcnt(11)
	v_mul_f64 v[85:86], v[47:48], v[38:39]
	v_mul_f64 v[87:88], v[45:46], v[38:39]
	s_waitcnt vmcnt(10)
	v_mul_f64 v[89:90], v[51:52], v[22:23]
	v_mul_f64 v[91:92], v[49:50], v[22:23]
	s_waitcnt vmcnt(9)
	v_mul_f64 v[93:94], v[55:56], v[18:19]
	v_mul_f64 v[95:96], v[53:54], v[18:19]
	s_waitcnt vmcnt(8)
	v_mul_f64 v[97:98], v[59:60], v[10:11]
	v_mul_f64 v[99:100], v[57:58], v[10:11]
	v_fma_f64 v[41:42], v[41:42], v[0:1], v[81:82]
	v_fma_f64 v[43:44], v[43:44], v[0:1], -v[83:84]
	s_waitcnt vmcnt(7)
	v_mul_f64 v[101:102], v[63:64], v[6:7]
	v_mul_f64 v[103:104], v[61:62], v[6:7]
	v_fma_f64 v[45:46], v[45:46], v[36:37], v[85:86]
	v_fma_f64 v[47:48], v[47:48], v[36:37], -v[87:88]
	v_fma_f64 v[49:50], v[49:50], v[20:21], v[89:90]
	s_waitcnt vmcnt(6)
	v_mul_f64 v[105:106], v[67:68], v[14:15]
	v_mul_f64 v[107:108], v[65:66], v[14:15]
	v_fma_f64 v[51:52], v[51:52], v[20:21], -v[91:92]
	v_fma_f64 v[53:54], v[53:54], v[16:17], v[93:94]
	v_fma_f64 v[55:56], v[55:56], v[16:17], -v[95:96]
	s_waitcnt vmcnt(4)
	v_mul_f64 v[109:110], v[71:72], v[26:27]
	v_mul_f64 v[111:112], v[69:70], v[26:27]
	s_waitcnt vmcnt(2)
	v_mul_f64 v[113:114], v[75:76], v[30:31]
	v_mul_f64 v[115:116], v[73:74], v[30:31]
	;; [unrolled: 3-line block ×3, first 2 shown]
	v_fma_f64 v[57:58], v[57:58], v[8:9], v[97:98]
	v_fma_f64 v[59:60], v[59:60], v[8:9], -v[99:100]
	v_fma_f64 v[61:62], v[61:62], v[4:5], v[101:102]
	v_fma_f64 v[63:64], v[63:64], v[4:5], -v[103:104]
	;; [unrolled: 2-line block ×6, first 2 shown]
	ds_write_b128 v198, v[41:44]
	ds_write_b128 v198, v[45:48] offset:2880
	ds_write_b128 v198, v[49:52] offset:5760
	;; [unrolled: 1-line block ×9, first 2 shown]
	s_waitcnt lgkmcnt(0)
	s_barrier
	buffer_gl0_inv
	ds_read_b128 v[41:44], v198 offset:14400
	ds_read_b128 v[45:48], v198 offset:20160
	ds_read_b128 v[49:52], v198 offset:25920
	ds_read_b128 v[53:56], v198 offset:8640
	ds_read_b128 v[57:60], v198 offset:5760
	ds_read_b128 v[61:64], v198 offset:11520
	ds_read_b128 v[65:68], v198
	ds_read_b128 v[69:72], v198 offset:17280
	ds_read_b128 v[73:76], v198 offset:23040
	;; [unrolled: 1-line block ×3, first 2 shown]
	s_waitcnt lgkmcnt(0)
	s_barrier
	buffer_gl0_inv
	v_add_f64 v[81:82], v[41:42], v[45:46]
	v_add_f64 v[87:88], v[43:44], v[47:48]
	;; [unrolled: 1-line block ×4, first 2 shown]
	v_add_f64 v[99:100], v[55:56], -v[51:52]
	v_add_f64 v[101:102], v[43:44], -v[47:48]
	;; [unrolled: 1-line block ×4, first 2 shown]
	v_add_f64 v[89:90], v[65:66], v[57:58]
	v_add_f64 v[91:92], v[61:62], v[69:70]
	;; [unrolled: 1-line block ×5, first 2 shown]
	v_add_f64 v[121:122], v[53:54], -v[41:42]
	v_add_f64 v[123:124], v[49:50], -v[45:46]
	;; [unrolled: 1-line block ×6, first 2 shown]
	v_add_f64 v[115:116], v[67:68], v[59:60]
	v_add_f64 v[93:94], v[59:60], -v[75:76]
	v_add_f64 v[95:96], v[63:64], -v[71:72]
	v_fma_f64 v[81:82], v[81:82], -0.5, v[77:78]
	v_fma_f64 v[87:88], v[87:88], -0.5, v[79:80]
	;; [unrolled: 1-line block ×4, first 2 shown]
	v_add_f64 v[77:78], v[77:78], v[53:54]
	v_add_f64 v[53:54], v[41:42], -v[53:54]
	v_add_f64 v[79:80], v[79:80], v[55:56]
	v_add_f64 v[55:56], v[55:56], -v[43:44]
	v_add_f64 v[97:98], v[57:58], -v[61:62]
	;; [unrolled: 1-line block ×7, first 2 shown]
	v_fma_f64 v[91:92], v[91:92], -0.5, v[65:66]
	v_add_f64 v[61:62], v[89:90], v[61:62]
	v_fma_f64 v[65:66], v[107:108], -0.5, v[65:66]
	v_fma_f64 v[89:90], v[117:118], -0.5, v[67:68]
	;; [unrolled: 1-line block ×3, first 2 shown]
	v_add_f64 v[107:108], v[121:122], v[123:124]
	v_add_f64 v[117:118], v[127:128], v[129:130]
	v_add_f64 v[143:144], v[59:60], -v[63:64]
	v_fma_f64 v[131:132], v[99:100], s[0:1], v[81:82]
	v_fma_f64 v[81:82], v[99:100], s[14:15], v[81:82]
	v_fma_f64 v[133:134], v[103:104], s[0:1], v[83:84]
	v_fma_f64 v[135:136], v[101:102], s[0:1], v[85:86]
	v_fma_f64 v[85:86], v[101:102], s[14:15], v[85:86]
	v_fma_f64 v[83:84], v[103:104], s[14:15], v[83:84]
	v_fma_f64 v[139:140], v[111:112], s[0:1], v[87:88]
	v_fma_f64 v[87:88], v[111:112], s[14:15], v[87:88]
	v_add_f64 v[53:54], v[53:54], v[125:126]
	v_add_f64 v[55:56], v[55:56], v[137:138]
	v_add_f64 v[59:60], v[63:64], -v[59:60]
	v_add_f64 v[63:64], v[115:116], v[63:64]
	v_add_f64 v[41:42], v[77:78], v[41:42]
	;; [unrolled: 1-line block ×3, first 2 shown]
	v_add_f64 v[145:146], v[75:76], -v[71:72]
	v_add_f64 v[97:98], v[97:98], v[105:106]
	v_fma_f64 v[77:78], v[93:94], s[0:1], v[91:92]
	v_fma_f64 v[79:80], v[93:94], s[14:15], v[91:92]
	;; [unrolled: 1-line block ×5, first 2 shown]
	v_add_f64 v[147:148], v[71:72], -v[75:76]
	v_fma_f64 v[119:120], v[101:102], s[12:13], v[131:132]
	v_fma_f64 v[81:82], v[101:102], s[16:17], v[81:82]
	;; [unrolled: 1-line block ×7, first 2 shown]
	v_add_f64 v[101:102], v[109:110], v[113:114]
	v_fma_f64 v[109:110], v[141:142], s[0:1], v[67:68]
	v_fma_f64 v[67:68], v[141:142], s[14:15], v[67:68]
	;; [unrolled: 1-line block ×4, first 2 shown]
	v_add_f64 v[61:62], v[61:62], v[69:70]
	v_add_f64 v[63:64], v[63:64], v[71:72]
	;; [unrolled: 1-line block ×4, first 2 shown]
	v_fma_f64 v[45:46], v[95:96], s[12:13], v[77:78]
	v_fma_f64 v[47:48], v[95:96], s[16:17], v[79:80]
	;; [unrolled: 1-line block ×5, first 2 shown]
	v_add_f64 v[59:60], v[59:60], v[147:148]
	v_fma_f64 v[103:104], v[107:108], s[6:7], v[119:120]
	v_fma_f64 v[81:82], v[107:108], s[6:7], v[81:82]
	v_fma_f64 v[111:112], v[117:118], s[6:7], v[121:122]
	v_fma_f64 v[113:114], v[53:54], s[6:7], v[123:124]
	v_fma_f64 v[53:54], v[53:54], s[6:7], v[85:86]
	v_fma_f64 v[83:84], v[117:118], s[6:7], v[83:84]
	v_fma_f64 v[85:86], v[55:56], s[6:7], v[99:100]
	v_add_f64 v[107:108], v[143:144], v[145:146]
	v_fma_f64 v[79:80], v[57:58], s[16:17], v[109:110]
	v_fma_f64 v[57:58], v[57:58], s[12:13], v[67:68]
	;; [unrolled: 1-line block ×4, first 2 shown]
	v_add_f64 v[61:62], v[61:62], v[73:74]
	v_add_f64 v[63:64], v[63:64], v[75:76]
	;; [unrolled: 1-line block ×4, first 2 shown]
	v_fma_f64 v[73:74], v[97:98], s[6:7], v[45:46]
	v_fma_f64 v[75:76], v[97:98], s[6:7], v[47:48]
	;; [unrolled: 1-line block ×4, first 2 shown]
                                        ; implicit-def: $vgpr124_vgpr125
	v_mul_f64 v[67:68], v[103:104], s[18:19]
	v_mul_f64 v[93:94], v[103:104], s[16:17]
	;; [unrolled: 1-line block ×8, first 2 shown]
	v_fma_f64 v[70:71], v[107:108], s[6:7], v[71:72]
	v_fma_f64 v[79:80], v[59:60], s[6:7], v[79:80]
	;; [unrolled: 1-line block ×4, first 2 shown]
	v_add_f64 v[41:42], v[61:62], v[49:50]
	v_add_f64 v[43:44], v[63:64], v[51:52]
	v_add_f64 v[45:46], v[61:62], -v[49:50]
	v_add_f64 v[47:48], v[63:64], -v[51:52]
	v_fma_f64 v[67:68], v[55:56], s[12:13], v[67:68]
	v_fma_f64 v[105:106], v[55:56], s[18:19], v[93:94]
	;; [unrolled: 1-line block ×3, first 2 shown]
	v_fma_f64 v[83:84], v[83:84], s[0:1], -v[89:90]
	v_fma_f64 v[94:95], v[111:112], s[6:7], v[95:96]
	v_fma_f64 v[99:100], v[113:114], s[14:15], -v[99:100]
	v_fma_f64 v[89:90], v[85:86], s[12:13], -v[91:92]
	;; [unrolled: 1-line block ×3, first 2 shown]
	v_add_f64 v[49:50], v[73:74], v[67:68]
	v_add_f64 v[51:52], v[70:71], v[105:106]
	;; [unrolled: 1-line block ×8, first 2 shown]
	v_add_f64 v[68:69], v[73:74], -v[67:68]
	v_add_f64 v[70:71], v[70:71], -v[105:106]
	;; [unrolled: 1-line block ×8, first 2 shown]
	v_mov_b32_e32 v65, 4
	v_mul_lo_u16 v66, v40, 10
                                        ; implicit-def: $vgpr104_vgpr105
	v_lshlrev_b32_sdwa v201, v65, v66 dst_sel:DWORD dst_unused:UNUSED_PAD src0_sel:DWORD src1_sel:WORD_0
	ds_write_b128 v201, v[41:44]
	ds_write_b128 v201, v[45:48] offset:80
	ds_write_b128 v201, v[49:52] offset:16
	;; [unrolled: 1-line block ×9, first 2 shown]
	s_waitcnt lgkmcnt(0)
	s_barrier
	buffer_gl0_inv
	ds_read_b128 v[88:91], v198
	ds_read_b128 v[112:115], v198 offset:4800
	ds_read_b128 v[96:99], v198 offset:9600
	;; [unrolled: 1-line block ×5, first 2 shown]
	s_and_saveexec_b32 s0, vcc_lo
	s_cbranch_execz .LBB0_3
; %bb.2:
	ds_read_b128 v[68:71], v198 offset:2880
	ds_read_b128 v[92:95], v198 offset:7680
	;; [unrolled: 1-line block ×6, first 2 shown]
.LBB0_3:
	s_or_b32 exec_lo, exec_lo, s0
	v_and_b32_e32 v129, 0xff, v197
	v_add_co_u32 v128, null, 0xb4, v197
	v_mov_b32_e32 v41, 0xcccd
	s_mov_b32 s7, 0xbfebb67a
	v_mul_lo_u16 v40, 0xcd, v129
	v_lshrrev_b16 v184, 11, v40
	v_mul_u32_u24_sdwa v40, v128, v41 dst_sel:DWORD dst_unused:UNUSED_PAD src0_sel:WORD_0 src1_sel:DWORD
	v_mul_lo_u16 v41, v184, 10
	v_lshrrev_b32_e32 v199, 19, v40
	v_sub_nc_u16 v40, v197, v41
	v_mul_lo_u16 v41, v199, 10
	v_and_b32_e32 v185, 0xff, v40
	v_sub_nc_u16 v200, v128, v41
	v_mad_u64_u32 v[44:45], null, 0x50, v185, s[2:3]
	v_mul_lo_u16 v40, 0x50, v200
	s_clause 0x1
	global_load_dwordx4 v[72:75], v[44:45], off offset:32
	global_load_dwordx4 v[76:79], v[44:45], off offset:64
	v_and_b32_e32 v40, 0xffff, v40
	v_add_co_u32 v46, s0, s2, v40
	v_add_co_ci_u32_e64 v47, null, s3, 0, s0
	s_clause 0x7
	global_load_dwordx4 v[64:67], v[46:47], off offset:32
	global_load_dwordx4 v[80:83], v[46:47], off offset:64
	global_load_dwordx4 v[52:55], v[44:45], off
	global_load_dwordx4 v[40:43], v[46:47], off
	global_load_dwordx4 v[60:63], v[44:45], off offset:16
	global_load_dwordx4 v[56:59], v[44:45], off offset:48
	;; [unrolled: 1-line block ×4, first 2 shown]
	s_mov_b32 s0, 0xe8584caa
	s_mov_b32 s1, 0x3febb67a
	;; [unrolled: 1-line block ×3, first 2 shown]
	s_waitcnt vmcnt(0) lgkmcnt(0)
	s_barrier
	buffer_gl0_inv
	v_mul_f64 v[130:131], v[118:119], v[74:75]
	v_mul_f64 v[132:133], v[116:117], v[74:75]
	v_mul_f64 v[134:135], v[120:121], v[78:79]
	v_mul_f64 v[136:137], v[122:123], v[78:79]
	v_mul_f64 v[138:139], v[110:111], v[66:67]
	v_mul_f64 v[140:141], v[108:109], v[66:67]
	v_mul_f64 v[142:143], v[124:125], v[82:83]
	v_mul_f64 v[144:145], v[126:127], v[82:83]
	v_mul_f64 v[146:147], v[114:115], v[54:55]
	v_mul_f64 v[148:149], v[112:113], v[54:55]
	v_mul_f64 v[150:151], v[106:107], v[46:47]
	v_mul_f64 v[152:153], v[104:105], v[46:47]
	v_fma_f64 v[130:131], v[116:117], v[72:73], -v[130:131]
	v_fma_f64 v[132:133], v[118:119], v[72:73], v[132:133]
	v_fma_f64 v[122:123], v[122:123], v[76:77], v[134:135]
	v_fma_f64 v[120:121], v[120:121], v[76:77], -v[136:137]
	v_mul_f64 v[134:135], v[94:95], v[42:43]
	v_mul_f64 v[136:137], v[92:93], v[42:43]
	v_fma_f64 v[116:117], v[108:109], v[64:65], -v[138:139]
	v_fma_f64 v[118:119], v[110:111], v[64:65], v[140:141]
	v_fma_f64 v[110:111], v[126:127], v[80:81], v[142:143]
	v_fma_f64 v[108:109], v[124:125], v[80:81], -v[144:145]
	v_mul_f64 v[124:125], v[98:99], v[62:63]
	v_mul_f64 v[126:127], v[96:97], v[62:63]
	;; [unrolled: 1-line block ×4, first 2 shown]
	v_fma_f64 v[112:113], v[112:113], v[52:53], -v[146:147]
	v_fma_f64 v[114:115], v[114:115], v[52:53], v[148:149]
	v_mul_f64 v[146:147], v[86:87], v[50:51]
	v_mul_f64 v[148:149], v[84:85], v[50:51]
	v_add_f64 v[142:143], v[132:133], v[122:123]
	v_add_f64 v[144:145], v[130:131], v[120:121]
	v_fma_f64 v[92:93], v[92:93], v[40:41], -v[134:135]
	v_fma_f64 v[94:95], v[94:95], v[40:41], v[136:137]
	v_add_f64 v[134:135], v[118:119], v[110:111]
	v_add_f64 v[136:137], v[116:117], v[108:109]
	v_fma_f64 v[124:125], v[96:97], v[60:61], -v[124:125]
	v_fma_f64 v[126:127], v[98:99], v[60:61], v[126:127]
	v_fma_f64 v[100:101], v[100:101], v[56:57], -v[138:139]
	v_fma_f64 v[102:103], v[102:103], v[56:57], v[140:141]
	v_add_f64 v[138:139], v[132:133], -v[122:123]
	v_add_f64 v[140:141], v[130:131], -v[120:121]
	v_fma_f64 v[96:97], v[84:85], v[48:49], -v[146:147]
	v_fma_f64 v[98:99], v[86:87], v[48:49], v[148:149]
	v_fma_f64 v[84:85], v[104:105], v[44:45], -v[150:151]
	v_fma_f64 v[86:87], v[106:107], v[44:45], v[152:153]
	v_add_f64 v[104:105], v[118:119], -v[110:111]
	v_add_f64 v[106:107], v[116:117], -v[108:109]
	v_fma_f64 v[142:143], v[142:143], -0.5, v[114:115]
	v_fma_f64 v[144:145], v[144:145], -0.5, v[112:113]
	v_add_f64 v[112:113], v[112:113], v[130:131]
	v_add_f64 v[114:115], v[114:115], v[132:133]
	v_fma_f64 v[134:135], v[134:135], -0.5, v[94:95]
	v_fma_f64 v[136:137], v[136:137], -0.5, v[92:93]
	v_add_f64 v[146:147], v[124:125], v[100:101]
	v_add_f64 v[148:149], v[126:127], v[102:103]
	v_add_f64 v[160:161], v[96:97], -v[84:85]
	v_add_f64 v[130:131], v[98:99], -v[86:87]
	v_fma_f64 v[150:151], v[140:141], s[6:7], v[142:143]
	v_fma_f64 v[152:153], v[138:139], s[6:7], v[144:145]
	v_fma_f64 v[138:139], v[138:139], s[0:1], v[144:145]
	v_fma_f64 v[140:141], v[140:141], s[0:1], v[142:143]
	v_add_f64 v[142:143], v[96:97], v[84:85]
	v_add_f64 v[144:145], v[98:99], v[86:87]
	;; [unrolled: 1-line block ×3, first 2 shown]
	v_fma_f64 v[154:155], v[106:107], s[6:7], v[134:135]
	v_fma_f64 v[156:157], v[104:105], s[6:7], v[136:137]
	;; [unrolled: 1-line block ×4, first 2 shown]
	v_add_f64 v[104:105], v[88:89], v[124:125]
	v_add_f64 v[106:107], v[126:127], -v[102:103]
	v_add_f64 v[126:127], v[90:91], v[126:127]
	v_fma_f64 v[88:89], v[146:147], -0.5, v[88:89]
	v_add_f64 v[124:125], v[124:125], -v[100:101]
	v_fma_f64 v[90:91], v[148:149], -0.5, v[90:91]
	v_add_f64 v[174:175], v[114:115], v[122:123]
	v_mul_f64 v[132:133], v[150:151], s[0:1]
	v_mul_f64 v[146:147], v[152:153], -0.5
	v_mul_f64 v[148:149], v[138:139], s[6:7]
	v_mul_f64 v[158:159], v[140:141], -0.5
	v_fma_f64 v[142:143], v[142:143], -0.5, v[68:69]
	v_fma_f64 v[144:145], v[144:145], -0.5, v[70:71]
	v_mul_f64 v[162:163], v[154:155], s[0:1]
	v_mul_f64 v[164:165], v[156:157], -0.5
	v_mul_f64 v[166:167], v[136:137], s[6:7]
	v_mul_f64 v[168:169], v[134:135], -0.5
	v_add_f64 v[170:171], v[104:105], v[100:101]
	v_add_f64 v[126:127], v[126:127], v[102:103]
	v_fma_f64 v[176:177], v[106:107], s[0:1], v[88:89]
	v_fma_f64 v[178:179], v[106:107], s[6:7], v[88:89]
	;; [unrolled: 1-line block ×4, first 2 shown]
	v_fma_f64 v[138:139], v[138:139], 0.5, v[132:133]
	v_fma_f64 v[140:141], v[140:141], s[0:1], v[146:147]
	v_fma_f64 v[146:147], v[150:151], 0.5, v[148:149]
	v_fma_f64 v[148:149], v[152:153], s[6:7], v[158:159]
	v_fma_f64 v[88:89], v[130:131], s[0:1], v[142:143]
	;; [unrolled: 1-line block ×5, first 2 shown]
	v_fma_f64 v[100:101], v[136:137], 0.5, v[162:163]
	v_fma_f64 v[102:103], v[134:135], s[0:1], v[164:165]
	v_fma_f64 v[112:113], v[154:155], 0.5, v[166:167]
	v_fma_f64 v[114:115], v[156:157], s[6:7], v[168:169]
	v_add_f64 v[120:121], v[170:171], v[172:173]
	v_add_f64 v[122:123], v[126:127], v[174:175]
	v_add_f64 v[124:125], v[170:171], -v[172:173]
	v_add_f64 v[126:127], v[126:127], -v[174:175]
	v_add_f64 v[130:131], v[176:177], v[138:139]
	v_add_f64 v[134:135], v[178:179], v[140:141]
	;; [unrolled: 1-line block ×4, first 2 shown]
	v_add_f64 v[144:145], v[182:183], -v[148:149]
	v_add_f64 v[138:139], v[176:177], -v[138:139]
	;; [unrolled: 1-line block ×8, first 2 shown]
	v_mov_b32_e32 v146, 60
	v_mul_u32_u24_sdwa v146, v184, v146 dst_sel:DWORD dst_unused:UNUSED_PAD src0_sel:WORD_0 src1_sel:DWORD
	v_add_lshl_u32 v204, v146, v185, 4
	ds_write_b128 v204, v[120:123]
	ds_write_b128 v204, v[124:127] offset:480
	ds_write_b128 v204, v[130:133] offset:160
	;; [unrolled: 1-line block ×5, first 2 shown]
	s_and_saveexec_b32 s0, vcc_lo
	s_cbranch_execz .LBB0_5
; %bb.4:
	v_add_f64 v[70:71], v[70:71], v[98:99]
	v_add_f64 v[94:95], v[94:95], v[118:119]
	;; [unrolled: 1-line block ×12, first 2 shown]
	v_add_f64 v[90:91], v[96:97], -v[94:95]
	v_add_f64 v[94:95], v[96:97], v[94:95]
	v_add_f64 v[92:93], v[98:99], v[108:109]
	v_add_f64 v[88:89], v[98:99], -v[108:109]
	v_mad_u16 v96, v199, 60, v200
	v_mov_b32_e32 v97, 4
	v_lshlrev_b32_sdwa v96, v97, v96 dst_sel:DWORD dst_unused:UNUSED_PAD src0_sel:DWORD src1_sel:WORD_0
	ds_write_b128 v96, v[148:151] offset:640
	ds_write_b128 v96, v[84:87] offset:160
	;; [unrolled: 1-line block ×3, first 2 shown]
	ds_write_b128 v96, v[92:95]
	ds_write_b128 v96, v[88:91] offset:480
	ds_write_b128 v96, v[152:155] offset:800
.LBB0_5:
	s_or_b32 exec_lo, exec_lo, s0
	v_mul_lo_u16 v68, 0x89, v129
	s_waitcnt lgkmcnt(0)
	s_barrier
	buffer_gl0_inv
	s_mov_b32 s0, 0x134454ff
	v_lshrrev_b16 v112, 13, v68
	s_mov_b32 s1, 0x3fee6f0e
	s_mov_b32 s14, s0
	;; [unrolled: 1-line block ×4, first 2 shown]
	v_mul_lo_u16 v68, v112, 60
	s_mov_b32 s16, s6
	s_mov_b32 s12, 0x372fe950
	s_mov_b32 s13, 0x3fd3c6ef
	v_mov_b32_e32 v147, 0x258
	v_sub_nc_u16 v68, v197, v68
	v_mul_u32_u24_sdwa v112, v112, v147 dst_sel:DWORD dst_unused:UNUSED_PAD src0_sel:WORD_0 src1_sel:DWORD
	v_and_b32_e32 v113, 0xff, v68
	v_mad_u64_u32 v[100:101], null, 0x90, v113, s[2:3]
	s_clause 0x8
	global_load_dwordx4 v[84:87], v[100:101], off offset:832
	global_load_dwordx4 v[92:95], v[100:101], off offset:864
	;; [unrolled: 1-line block ×9, first 2 shown]
	ds_read_b128 v[120:123], v198 offset:8640
	ds_read_b128 v[124:127], v198 offset:14400
	;; [unrolled: 1-line block ×9, first 2 shown]
	s_waitcnt vmcnt(8) lgkmcnt(8)
	v_mul_f64 v[114:115], v[122:123], v[86:87]
	s_waitcnt vmcnt(7) lgkmcnt(7)
	v_mul_f64 v[168:169], v[126:127], v[94:95]
	v_mul_f64 v[170:171], v[124:125], v[94:95]
	s_waitcnt vmcnt(6) lgkmcnt(6)
	v_mul_f64 v[172:173], v[131:132], v[90:91]
	;; [unrolled: 3-line block ×3, first 2 shown]
	v_mul_f64 v[145:146], v[120:121], v[86:87]
	v_mul_f64 v[176:177], v[133:134], v[98:99]
	s_waitcnt vmcnt(4) lgkmcnt(4)
	v_mul_f64 v[180:181], v[139:140], v[70:71]
	v_mul_f64 v[182:183], v[137:138], v[70:71]
	s_waitcnt vmcnt(3) lgkmcnt(3)
	;; [unrolled: 3-line block ×5, first 2 shown]
	v_mul_f64 v[205:206], v[164:165], v[102:103]
	v_fma_f64 v[114:115], v[120:121], v[84:85], -v[114:115]
	v_fma_f64 v[124:125], v[124:125], v[92:93], -v[168:169]
	v_fma_f64 v[126:127], v[126:127], v[92:93], v[170:171]
	v_fma_f64 v[129:130], v[129:130], v[88:89], -v[172:173]
	v_fma_f64 v[131:132], v[131:132], v[88:89], v[174:175]
	;; [unrolled: 2-line block ×3, first 2 shown]
	v_fma_f64 v[135:136], v[135:136], v[96:97], v[176:177]
	v_mul_f64 v[168:169], v[166:167], v[102:103]
	v_fma_f64 v[137:138], v[137:138], v[68:69], -v[180:181]
	v_fma_f64 v[139:140], v[139:140], v[68:69], v[182:183]
	v_fma_f64 v[141:142], v[141:142], v[116:117], -v[184:185]
	v_fma_f64 v[143:144], v[143:144], v[116:117], v[186:187]
	;; [unrolled: 2-line block ×4, first 2 shown]
	v_fma_f64 v[166:167], v[166:167], v[100:101], v[205:206]
	ds_read_b128 v[120:123], v198
	s_waitcnt lgkmcnt(0)
	s_barrier
	buffer_gl0_inv
	v_add_f64 v[219:220], v[114:115], -v[124:125]
	v_add_f64 v[223:224], v[124:125], -v[114:115]
	v_add_f64 v[170:171], v[124:125], v[129:130]
	v_add_f64 v[172:173], v[126:127], v[131:132]
	v_add_f64 v[176:177], v[114:115], v[133:134]
	v_add_f64 v[186:187], v[126:127], -v[131:132]
	v_add_f64 v[174:175], v[145:146], v[135:136]
	v_fma_f64 v[164:165], v[164:165], v[100:101], -v[168:169]
	v_add_f64 v[184:185], v[145:146], -v[135:136]
	v_add_f64 v[188:189], v[114:115], -v[133:134]
	;; [unrolled: 1-line block ×6, first 2 shown]
	v_add_f64 v[178:179], v[156:157], v[160:161]
	v_add_f64 v[213:214], v[158:159], v[162:163]
	;; [unrolled: 1-line block ×3, first 2 shown]
	v_add_f64 v[229:230], v[135:136], -v[131:132]
	v_add_f64 v[231:232], v[126:127], -v[145:146]
	;; [unrolled: 1-line block ×3, first 2 shown]
	v_add_f64 v[168:169], v[120:121], v[141:142]
	v_add_f64 v[211:212], v[122:123], v[143:144]
	;; [unrolled: 1-line block ×3, first 2 shown]
	v_add_f64 v[180:181], v[143:144], -v[166:167]
	v_fma_f64 v[170:171], v[170:171], -0.5, v[137:138]
	v_fma_f64 v[172:173], v[172:173], -0.5, v[139:140]
	;; [unrolled: 1-line block ×3, first 2 shown]
	v_add_f64 v[137:138], v[139:140], v[145:146]
	v_fma_f64 v[174:175], v[174:175], -0.5, v[139:140]
	v_add_f64 v[205:206], v[141:142], v[164:165]
	v_add_f64 v[182:183], v[158:159], -v[162:163]
	v_add_f64 v[192:193], v[141:142], -v[156:157]
	;; [unrolled: 1-line block ×6, first 2 shown]
	v_fma_f64 v[139:140], v[178:179], -0.5, v[120:121]
	v_fma_f64 v[145:146], v[213:214], -0.5, v[122:123]
	;; [unrolled: 1-line block ×3, first 2 shown]
	v_add_f64 v[178:179], v[219:220], v[221:222]
	v_add_f64 v[213:214], v[227:228], v[229:230]
	v_add_f64 v[209:210], v[160:161], -v[164:165]
	v_add_f64 v[217:218], v[231:232], v[233:234]
	v_add_f64 v[243:244], v[143:144], -v[158:159]
	v_add_f64 v[143:144], v[158:159], -v[143:144]
	v_add_f64 v[156:157], v[168:169], v[156:157]
	v_fma_f64 v[241:242], v[184:185], s[14:15], v[170:171]
	v_fma_f64 v[235:236], v[188:189], s[14:15], v[172:173]
	v_fma_f64 v[239:240], v[186:187], s[0:1], v[176:177]
	v_fma_f64 v[170:171], v[184:185], s[0:1], v[170:171]
	v_fma_f64 v[237:238], v[190:191], s[0:1], v[174:175]
	v_fma_f64 v[176:177], v[186:187], s[14:15], v[176:177]
	v_fma_f64 v[174:175], v[190:191], s[14:15], v[174:175]
	v_fma_f64 v[172:173], v[188:189], s[0:1], v[172:173]
	v_fma_f64 v[120:121], v[205:206], -0.5, v[120:121]
	v_add_f64 v[205:206], v[223:224], v[225:226]
	v_add_f64 v[158:159], v[211:212], v[158:159]
	;; [unrolled: 1-line block ×4, first 2 shown]
	v_add_f64 v[245:246], v[166:167], -v[162:163]
	v_add_f64 v[168:169], v[192:193], v[194:195]
	v_fma_f64 v[126:127], v[180:181], s[0:1], v[139:140]
	v_fma_f64 v[137:138], v[180:181], s[14:15], v[139:140]
	v_add_f64 v[247:248], v[162:163], -v[166:167]
	v_add_f64 v[156:157], v[156:157], v[160:161]
	v_fma_f64 v[225:226], v[186:187], s[16:17], v[241:242]
	v_fma_f64 v[219:220], v[190:191], s[16:17], v[235:236]
	;; [unrolled: 1-line block ×13, first 2 shown]
	v_add_f64 v[184:185], v[207:208], v[209:210]
	v_fma_f64 v[120:121], v[182:183], s[0:1], v[120:121]
	v_add_f64 v[158:159], v[158:159], v[162:163]
	v_add_f64 v[114:115], v[114:115], v[129:130]
	;; [unrolled: 1-line block ×3, first 2 shown]
	v_fma_f64 v[126:127], v[182:183], s[6:7], v[126:127]
	v_fma_f64 v[129:130], v[182:183], s[16:17], v[137:138]
	v_add_f64 v[143:144], v[143:144], v[247:248]
	v_add_f64 v[156:157], v[156:157], v[164:165]
	v_fma_f64 v[207:208], v[178:179], s[12:13], v[225:226]
	v_fma_f64 v[190:191], v[213:214], s[12:13], v[219:220]
	;; [unrolled: 1-line block ×8, first 2 shown]
	v_add_f64 v[178:179], v[243:244], v[245:246]
	v_fma_f64 v[131:132], v[180:181], s[6:7], v[139:140]
	v_fma_f64 v[137:138], v[215:216], s[16:17], v[186:187]
	;; [unrolled: 1-line block ×6, first 2 shown]
	v_add_f64 v[158:159], v[158:159], v[166:167]
	v_add_f64 v[114:115], v[114:115], v[133:134]
	;; [unrolled: 1-line block ×3, first 2 shown]
	v_fma_f64 v[164:165], v[168:169], s[12:13], v[126:127]
	v_fma_f64 v[166:167], v[168:169], s[12:13], v[129:130]
	v_mul_f64 v[180:181], v[207:208], s[18:19]
	v_mul_f64 v[141:142], v[190:191], s[6:7]
	;; [unrolled: 1-line block ×8, first 2 shown]
	v_fma_f64 v[168:169], v[184:185], s[12:13], v[131:132]
	v_fma_f64 v[209:210], v[178:179], s[12:13], v[137:138]
	;; [unrolled: 1-line block ×6, first 2 shown]
	v_add_f64 v[120:121], v[156:157], v[114:115]
	v_add_f64 v[122:123], v[158:159], v[133:134]
	v_add_f64 v[124:125], v[156:157], -v[114:115]
	v_add_f64 v[126:127], v[158:159], -v[133:134]
	v_fma_f64 v[172:173], v[172:173], s[6:7], -v[180:181]
	v_fma_f64 v[170:171], v[170:171], s[18:19], v[141:142]
	v_fma_f64 v[162:163], v[174:175], s[0:1], -v[162:163]
	v_fma_f64 v[174:175], v[190:191], s[18:19], v[182:183]
	v_fma_f64 v[176:177], v[176:177], s[12:13], v[160:161]
	;; [unrolled: 1-line block ×3, first 2 shown]
	v_fma_f64 v[182:183], v[194:195], s[14:15], -v[188:189]
	v_fma_f64 v[186:187], v[207:208], s[16:17], -v[205:206]
	v_add_lshl_u32 v205, v112, v113, 4
	v_cmp_gt_u16_e64 s0, 60, v197
	v_add_f64 v[141:142], v[166:167], v[172:173]
	v_add_f64 v[129:130], v[164:165], v[170:171]
	;; [unrolled: 1-line block ×8, first 2 shown]
	v_add_f64 v[160:161], v[164:165], -v[170:171]
	v_add_f64 v[164:165], v[168:169], -v[176:177]
	;; [unrolled: 1-line block ×8, first 2 shown]
	ds_write_b128 v205, v[120:123]
	ds_write_b128 v205, v[124:127] offset:4800
	ds_write_b128 v205, v[129:132] offset:960
	;; [unrolled: 1-line block ×9, first 2 shown]
	s_waitcnt lgkmcnt(0)
	s_barrier
	buffer_gl0_inv
	ds_read_b128 v[164:167], v198
	ds_read_b128 v[160:163], v198 offset:2880
	ds_read_b128 v[180:183], v198 offset:19200
	;; [unrolled: 1-line block ×8, first 2 shown]
	s_and_saveexec_b32 s1, s0
	s_cbranch_execz .LBB0_7
; %bb.6:
	ds_read_b128 v[156:159], v198 offset:8640
	ds_read_b128 v[148:151], v198 offset:18240
	;; [unrolled: 1-line block ×3, first 2 shown]
.LBB0_7:
	s_or_b32 exec_lo, exec_lo, s1
	v_lshlrev_b32_e32 v140, 5, v197
	v_lshlrev_b32_e32 v120, 5, v128
	s_mov_b32 s7, 0xbfebb67a
	v_add_co_u32 v114, s1, s2, v140
	v_add_co_ci_u32_e64 v115, null, s3, 0, s1
	v_add_co_u32 v112, s1, 0x24e0, v114
	v_add_co_ci_u32_e64 v113, s1, 0, v115, s1
	v_add_co_u32 v122, s1, s2, v120
	v_add_co_ci_u32_e64 v123, null, s3, 0, s1
	v_add_co_u32 v114, s1, 0x2000, v114
	v_add_co_ci_u32_e64 v115, s1, 0, v115, s1
	v_add_co_u32 v120, s1, 0x24e0, v122
	v_add_co_ci_u32_e64 v121, s1, 0, v123, s1
	;; [unrolled: 2-line block ×3, first 2 shown]
	v_add_co_u32 v141, s1, 0x21c, v197
	v_add_co_ci_u32_e64 v142, null, 0, 0, s1
	s_clause 0x3
	global_load_dwordx4 v[124:127], v[114:115], off offset:1248
	global_load_dwordx4 v[128:131], v[112:113], off offset:16
	;; [unrolled: 1-line block ×4, first 2 shown]
	v_add_co_u32 v114, s1, 0xffffffc4, v197
	v_add_nc_u32_e32 v112, 0x2d00, v140
	v_add_co_ci_u32_e64 v113, null, 0, -1, s1
	v_add_co_u32 v120, s1, s2, v112
	v_cndmask_b32_e64 v113, v113, v142, s0
	v_cndmask_b32_e64 v112, v114, v141, s0
	v_add_co_ci_u32_e64 v121, null, s3, 0, s1
	v_add_co_u32 v114, s1, 0x24e0, v120
	v_lshlrev_b64 v[112:113], 5, v[112:113]
	v_add_co_ci_u32_e64 v115, s1, 0, v121, s1
	v_add_co_u32 v120, s1, 0x2000, v120
	v_add_co_ci_u32_e64 v121, s1, 0, v121, s1
	v_add_co_u32 v122, s1, s2, v112
	v_add_co_ci_u32_e64 v123, s1, s3, v113, s1
	global_load_dwordx4 v[140:143], v[120:121], off offset:1248
	v_add_co_u32 v112, s1, 0x2000, v122
	v_add_co_ci_u32_e64 v113, s1, 0, v123, s1
	v_add_co_u32 v120, s1, 0x24e0, v122
	v_add_co_ci_u32_e64 v121, s1, 0, v123, s1
	s_clause 0x2
	global_load_dwordx4 v[144:147], v[114:115], off offset:16
	global_load_dwordx4 v[112:115], v[112:113], off offset:1248
	global_load_dwordx4 v[120:123], v[120:121], off offset:16
	s_mov_b32 s2, 0xe8584caa
	s_mov_b32 s3, 0x3febb67a
	;; [unrolled: 1-line block ×3, first 2 shown]
	s_waitcnt vmcnt(7) lgkmcnt(4)
	v_mul_f64 v[206:207], v[194:195], v[126:127]
	v_mul_f64 v[208:209], v[192:193], v[126:127]
	s_waitcnt vmcnt(6)
	v_mul_f64 v[210:211], v[182:183], v[130:131]
	v_mul_f64 v[212:213], v[180:181], v[130:131]
	s_waitcnt vmcnt(5) lgkmcnt(2)
	v_mul_f64 v[214:215], v[190:191], v[134:135]
	v_mul_f64 v[216:217], v[188:189], v[134:135]
	s_waitcnt vmcnt(4)
	v_mul_f64 v[218:219], v[174:175], v[138:139]
	v_mul_f64 v[220:221], v[172:173], v[138:139]
	v_fma_f64 v[192:193], v[192:193], v[124:125], -v[206:207]
	v_fma_f64 v[194:195], v[194:195], v[124:125], v[208:209]
	v_fma_f64 v[180:181], v[180:181], v[128:129], -v[210:211]
	v_fma_f64 v[182:183], v[182:183], v[128:129], v[212:213]
	;; [unrolled: 2-line block ×4, first 2 shown]
	s_waitcnt vmcnt(3) lgkmcnt(1)
	v_mul_f64 v[222:223], v[186:187], v[142:143]
	v_mul_f64 v[224:225], v[184:185], v[142:143]
	s_waitcnt vmcnt(2) lgkmcnt(0)
	v_mul_f64 v[226:227], v[178:179], v[146:147]
	v_mul_f64 v[228:229], v[176:177], v[146:147]
	s_waitcnt vmcnt(1)
	v_mul_f64 v[230:231], v[150:151], v[114:115]
	s_waitcnt vmcnt(0)
	v_mul_f64 v[232:233], v[154:155], v[122:123]
	v_mul_f64 v[234:235], v[148:149], v[114:115]
	;; [unrolled: 1-line block ×3, first 2 shown]
	v_fma_f64 v[184:185], v[184:185], v[140:141], -v[222:223]
	v_fma_f64 v[186:187], v[186:187], v[140:141], v[224:225]
	v_add_f64 v[222:223], v[164:165], v[192:193]
	v_add_f64 v[224:225], v[194:195], -v[182:183]
	v_fma_f64 v[210:211], v[176:177], v[144:145], -v[226:227]
	v_fma_f64 v[212:213], v[178:179], v[144:145], v[228:229]
	v_fma_f64 v[174:175], v[148:149], v[112:113], -v[230:231]
	v_fma_f64 v[172:173], v[152:153], v[120:121], -v[232:233]
	v_fma_f64 v[178:179], v[150:151], v[112:113], v[234:235]
	v_fma_f64 v[176:177], v[154:155], v[120:121], v[236:237]
	v_add_f64 v[148:149], v[192:193], v[180:181]
	v_add_f64 v[150:151], v[194:195], v[182:183]
	;; [unrolled: 1-line block ×6, first 2 shown]
	v_add_f64 v[192:193], v[192:193], -v[180:181]
	v_add_f64 v[190:191], v[190:191], -v[208:209]
	;; [unrolled: 1-line block ×3, first 2 shown]
	v_add_f64 v[226:227], v[160:161], v[188:189]
	v_add_f64 v[230:231], v[168:169], v[184:185]
	v_add_f64 v[232:233], v[170:171], v[186:187]
	v_add_f64 v[214:215], v[184:185], v[210:211]
	v_add_f64 v[216:217], v[186:187], v[212:213]
	v_add_f64 v[236:237], v[186:187], -v[212:213]
	v_add_f64 v[218:219], v[174:175], v[172:173]
	v_add_f64 v[242:243], v[174:175], -v[172:173]
	v_add_f64 v[220:221], v[178:179], v[176:177]
	v_fma_f64 v[148:149], v[148:149], -0.5, v[164:165]
	v_fma_f64 v[150:151], v[150:151], -0.5, v[166:167]
	;; [unrolled: 1-line block ×4, first 2 shown]
	v_add_f64 v[240:241], v[178:179], -v[176:177]
	v_add_f64 v[238:239], v[184:185], -v[210:211]
	v_add_f64 v[160:161], v[222:223], v[180:181]
	v_add_f64 v[162:163], v[194:195], v[182:183]
	;; [unrolled: 1-line block ×4, first 2 shown]
	v_fma_f64 v[214:215], v[214:215], -0.5, v[168:169]
	v_fma_f64 v[216:217], v[216:217], -0.5, v[170:171]
	v_add_f64 v[168:169], v[230:231], v[210:211]
	v_fma_f64 v[218:219], v[218:219], -0.5, v[156:157]
	v_add_f64 v[170:171], v[232:233], v[212:213]
	v_fma_f64 v[220:221], v[220:221], -0.5, v[158:159]
	v_fma_f64 v[180:181], v[224:225], s[2:3], v[148:149]
	v_fma_f64 v[184:185], v[224:225], s[6:7], v[148:149]
	;; [unrolled: 1-line block ×16, first 2 shown]
	ds_write_b128 v198, v[160:163]
	ds_write_b128 v198, v[180:183] offset:9600
	ds_write_b128 v198, v[184:187] offset:19200
	;; [unrolled: 1-line block ×8, first 2 shown]
	s_and_saveexec_b32 s1, s0
	s_cbranch_execz .LBB0_9
; %bb.8:
	v_add_f64 v[158:159], v[158:159], v[178:179]
	v_add_f64 v[156:157], v[156:157], v[174:175]
	;; [unrolled: 1-line block ×4, first 2 shown]
	ds_write_b128 v198, v[148:151] offset:18240
	ds_write_b128 v198, v[156:159] offset:8640
	;; [unrolled: 1-line block ×3, first 2 shown]
.LBB0_9:
	s_or_b32 exec_lo, exec_lo, s1
	v_add_co_u32 v156, s1, 0x7000, v202
	v_add_co_ci_u32_e64 v157, s1, 0, v203, s1
	s_waitcnt lgkmcnt(0)
	s_barrier
	buffer_gl0_inv
	global_load_dwordx4 v[156:159], v[156:157], off offset:128
	v_add_co_u32 v160, s1, 0x7800, v202
	v_add_co_ci_u32_e64 v161, s1, 0, v203, s1
	v_add_co_u32 v164, s1, 0x8000, v202
	v_add_co_ci_u32_e64 v165, s1, 0, v203, s1
	global_load_dwordx4 v[160:163], v[160:161], off offset:960
	v_add_co_u32 v168, s1, 0x9000, v202
	global_load_dwordx4 v[164:167], v[164:165], off offset:1792
	v_add_co_ci_u32_e64 v169, s1, 0, v203, s1
	v_add_co_u32 v172, s1, 0x9800, v202
	v_add_co_ci_u32_e64 v173, s1, 0, v203, s1
	global_load_dwordx4 v[168:171], v[168:169], off offset:576
	v_add_co_u32 v176, s1, 0xa800, v202
	global_load_dwordx4 v[172:175], v[172:173], off offset:1408
	;; [unrolled: 6-line block ×3, first 2 shown]
	v_add_co_ci_u32_e64 v185, s1, 0, v203, s1
	v_add_co_u32 v188, s1, 0xc800, v202
	v_add_co_ci_u32_e64 v189, s1, 0, v203, s1
	global_load_dwordx4 v[184:187], v[184:185], off offset:1856
	v_add_co_u32 v192, s1, 0xd000, v202
	v_add_co_ci_u32_e64 v193, s1, 0, v203, s1
	s_clause 0x1
	global_load_dwordx4 v[188:191], v[188:189], off offset:640
	global_load_dwordx4 v[192:195], v[192:193], off offset:1472
	ds_read_b128 v[206:209], v198
	ds_read_b128 v[210:213], v198 offset:2880
	s_mov_b32 s14, 0x134454ff
	s_mov_b32 s15, 0xbfee6f0e
	;; [unrolled: 1-line block ×14, first 2 shown]
	s_waitcnt vmcnt(9) lgkmcnt(1)
	v_mul_f64 v[202:203], v[208:209], v[158:159]
	v_mul_f64 v[158:159], v[206:207], v[158:159]
	s_waitcnt vmcnt(8) lgkmcnt(0)
	v_mul_f64 v[218:219], v[212:213], v[162:163]
	v_mul_f64 v[162:163], v[210:211], v[162:163]
	v_fma_f64 v[206:207], v[206:207], v[156:157], -v[202:203]
	v_fma_f64 v[208:209], v[208:209], v[156:157], v[158:159]
	ds_read_b128 v[156:159], v198 offset:5760
	ds_read_b128 v[214:217], v198 offset:8640
	v_fma_f64 v[210:211], v[210:211], v[160:161], -v[218:219]
	v_fma_f64 v[212:213], v[212:213], v[160:161], v[162:163]
	s_waitcnt vmcnt(7) lgkmcnt(1)
	v_mul_f64 v[160:161], v[158:159], v[166:167]
	v_mul_f64 v[162:163], v[156:157], v[166:167]
	s_waitcnt vmcnt(6) lgkmcnt(0)
	v_mul_f64 v[202:203], v[216:217], v[170:171]
	v_mul_f64 v[170:171], v[214:215], v[170:171]
	v_fma_f64 v[156:157], v[156:157], v[164:165], -v[160:161]
	v_fma_f64 v[158:159], v[158:159], v[164:165], v[162:163]
	ds_read_b128 v[160:163], v198 offset:11520
	ds_read_b128 v[164:167], v198 offset:14400
	v_fma_f64 v[214:215], v[214:215], v[168:169], -v[202:203]
	v_fma_f64 v[216:217], v[216:217], v[168:169], v[170:171]
	;; [unrolled: 12-line block ×4, first 2 shown]
	s_waitcnt vmcnt(1) lgkmcnt(1)
	v_mul_f64 v[184:185], v[178:179], v[190:191]
	v_mul_f64 v[186:187], v[176:177], v[190:191]
	s_waitcnt vmcnt(0) lgkmcnt(0)
	v_mul_f64 v[190:191], v[182:183], v[194:195]
	v_mul_f64 v[194:195], v[180:181], v[194:195]
	v_fma_f64 v[176:177], v[176:177], v[188:189], -v[184:185]
	v_fma_f64 v[178:179], v[178:179], v[188:189], v[186:187]
	v_fma_f64 v[180:181], v[180:181], v[192:193], -v[190:191]
	v_fma_f64 v[182:183], v[182:183], v[192:193], v[194:195]
	ds_write_b128 v198, v[206:209]
	ds_write_b128 v198, v[210:213] offset:2880
	ds_write_b128 v198, v[156:159] offset:5760
	;; [unrolled: 1-line block ×9, first 2 shown]
	s_waitcnt lgkmcnt(0)
	s_barrier
	buffer_gl0_inv
	ds_read_b128 v[156:159], v198 offset:5760
	ds_read_b128 v[160:163], v198
	ds_read_b128 v[164:167], v198 offset:2880
	ds_read_b128 v[168:171], v198 offset:8640
	;; [unrolled: 1-line block ×6, first 2 shown]
	s_waitcnt lgkmcnt(3)
	v_add_f64 v[218:219], v[156:157], -v[172:173]
	v_add_f64 v[188:189], v[160:161], v[156:157]
	v_add_f64 v[190:191], v[162:163], v[158:159]
	s_waitcnt lgkmcnt(2)
	v_add_f64 v[208:209], v[172:173], v[176:177]
	s_waitcnt lgkmcnt(1)
	v_add_f64 v[210:211], v[156:157], v[180:181]
	v_add_f64 v[212:213], v[174:175], v[178:179]
	;; [unrolled: 1-line block ×3, first 2 shown]
	v_add_f64 v[216:217], v[158:159], -v[182:183]
	v_add_f64 v[220:221], v[172:173], -v[156:157]
	;; [unrolled: 1-line block ×4, first 2 shown]
	s_waitcnt lgkmcnt(0)
	v_add_f64 v[234:235], v[170:171], -v[186:187]
	v_add_f64 v[230:231], v[168:169], -v[184:185]
	;; [unrolled: 1-line block ×3, first 2 shown]
	v_add_f64 v[202:203], v[188:189], v[172:173]
	v_add_f64 v[206:207], v[190:191], v[174:175]
	ds_read_b128 v[188:191], v198 offset:20160
	ds_read_b128 v[192:195], v198 offset:25920
	v_fma_f64 v[208:209], v[208:209], -0.5, v[160:161]
	v_fma_f64 v[160:161], v[210:211], -0.5, v[160:161]
	;; [unrolled: 1-line block ×4, first 2 shown]
	v_add_f64 v[212:213], v[158:159], -v[174:175]
	v_add_f64 v[158:159], v[174:175], -v[158:159]
	;; [unrolled: 1-line block ×5, first 2 shown]
	s_waitcnt lgkmcnt(0)
	s_barrier
	buffer_gl0_inv
	v_add_f64 v[224:225], v[186:187], v[190:191]
	v_add_f64 v[202:203], v[202:203], v[176:177]
	;; [unrolled: 1-line block ×4, first 2 shown]
	v_add_f64 v[176:177], v[176:177], -v[180:181]
	v_add_f64 v[178:179], v[178:179], -v[182:183]
	;; [unrolled: 1-line block ×5, first 2 shown]
	v_fma_f64 v[224:225], v[224:225], -0.5, v[166:167]
	v_add_f64 v[180:181], v[202:203], v[180:181]
	v_add_f64 v[182:183], v[206:207], v[182:183]
	;; [unrolled: 1-line block ×4, first 2 shown]
	v_fma_f64 v[226:227], v[226:227], -0.5, v[166:167]
	v_add_f64 v[166:167], v[166:167], v[170:171]
	v_add_f64 v[176:177], v[220:221], v[176:177]
	;; [unrolled: 1-line block ×4, first 2 shown]
	v_fma_f64 v[202:203], v[202:203], -0.5, v[164:165]
	v_fma_f64 v[206:207], v[206:207], -0.5, v[164:165]
	v_add_f64 v[164:165], v[164:165], v[168:169]
	v_add_f64 v[166:167], v[166:167], v[186:187]
	v_add_f64 v[186:187], v[186:187], -v[170:171]
	v_add_f64 v[168:169], v[168:169], -v[192:193]
	;; [unrolled: 1-line block ×3, first 2 shown]
	v_add_f64 v[164:165], v[164:165], v[184:185]
	v_add_f64 v[166:167], v[166:167], v[190:191]
	v_add_f64 v[190:191], v[190:191], -v[194:195]
	v_add_f64 v[184:185], v[184:185], -v[188:189]
	v_add_f64 v[164:165], v[164:165], v[188:189]
	v_add_f64 v[188:189], v[188:189], -v[192:193]
	v_add_f64 v[186:187], v[186:187], v[190:191]
	v_fma_f64 v[190:191], v[216:217], s[14:15], v[208:209]
	v_fma_f64 v[208:209], v[216:217], s[6:7], v[208:209]
	;; [unrolled: 1-line block ×3, first 2 shown]
	v_add_f64 v[166:167], v[166:167], v[194:195]
	v_add_f64 v[194:195], v[212:213], v[222:223]
	v_fma_f64 v[222:223], v[184:185], s[6:7], v[226:227]
	v_add_f64 v[212:213], v[234:235], v[238:239]
	v_add_f64 v[164:165], v[164:165], v[192:193]
	;; [unrolled: 1-line block ×3, first 2 shown]
	v_fma_f64 v[214:215], v[174:175], s[6:7], v[160:161]
	v_fma_f64 v[160:161], v[174:175], s[14:15], v[160:161]
	;; [unrolled: 1-line block ×6, first 2 shown]
	v_add_f64 v[188:189], v[232:233], v[188:189]
	v_fma_f64 v[214:215], v[216:217], s[12:13], v[214:215]
	v_fma_f64 v[160:161], v[216:217], s[2:3], v[160:161]
	;; [unrolled: 1-line block ×25, first 2 shown]
	v_mul_f64 v[216:217], v[206:207], s[14:15]
	v_fma_f64 v[186:187], v[172:173], s[2:3], v[186:187]
	v_fma_f64 v[172:173], v[172:173], s[12:13], v[210:211]
	;; [unrolled: 1-line block ×3, first 2 shown]
	v_mul_f64 v[212:213], v[208:209], s[12:13]
	v_fma_f64 v[156:157], v[156:157], s[12:13], v[162:163]
	v_fma_f64 v[162:163], v[188:189], s[16:17], v[222:223]
	v_mul_f64 v[206:207], v[206:207], s[16:17]
	v_mul_f64 v[188:189], v[168:169], s[14:15]
	;; [unrolled: 1-line block ×3, first 2 shown]
	v_fma_f64 v[178:179], v[178:179], s[16:17], v[202:203]
	v_mul_f64 v[202:203], v[184:185], s[12:13]
	v_mul_f64 v[184:185], v[184:185], s[22:23]
	v_fma_f64 v[222:223], v[192:193], s[16:17], v[174:175]
	v_fma_f64 v[192:193], v[176:177], s[16:17], v[214:215]
	v_add_f64 v[174:175], v[182:183], -v[166:167]
	v_mul_f64 v[220:221], v[218:219], s[2:3]
	v_fma_f64 v[186:187], v[194:195], s[16:17], v[186:187]
	v_fma_f64 v[210:211], v[158:159], s[16:17], v[210:211]
	v_fma_f64 v[212:213], v[218:219], s[18:19], v[212:213]
	v_fma_f64 v[214:215], v[162:163], s[16:17], v[216:217]
	v_fma_f64 v[162:163], v[162:163], s[6:7], v[206:207]
	v_fma_f64 v[216:217], v[176:177], s[16:17], v[160:161]
	v_fma_f64 v[218:219], v[170:171], s[20:21], v[188:189]
	v_fma_f64 v[224:225], v[170:171], s[6:7], v[168:169]
	v_fma_f64 v[206:207], v[194:195], s[16:17], v[172:173]
	v_fma_f64 v[202:203], v[178:179], s[22:23], v[202:203]
	v_fma_f64 v[226:227], v[178:179], s[2:3], v[184:185]
	v_add_f64 v[168:169], v[180:181], v[164:165]
	v_add_f64 v[170:171], v[182:183], v[166:167]
	v_add_f64 v[172:173], v[180:181], -v[164:165]
	v_fma_f64 v[208:209], v[208:209], s[18:19], v[220:221]
	v_fma_f64 v[220:221], v[158:159], s[16:17], v[156:157]
	v_add_f64 v[176:177], v[190:191], v[212:213]
	v_add_f64 v[156:157], v[190:191], -v[212:213]
	v_add_f64 v[180:181], v[192:193], v[214:215]
	v_add_f64 v[182:183], v[210:211], v[162:163]
	v_add_f64 v[160:161], v[192:193], -v[214:215]
	v_add_f64 v[188:189], v[216:217], v[218:219]
	v_add_f64 v[162:163], v[210:211], -v[162:163]
	v_add_f64 v[164:165], v[216:217], -v[218:219]
	v_add_f64 v[192:193], v[222:223], v[202:203]
	v_add_f64 v[194:195], v[206:207], v[226:227]
	v_add_f64 v[184:185], v[222:223], -v[202:203]
	v_add_f64 v[178:179], v[186:187], v[208:209]
	v_add_f64 v[190:191], v[220:221], v[224:225]
	v_add_f64 v[158:159], v[186:187], -v[208:209]
	v_add_f64 v[166:167], v[220:221], -v[224:225]
	;; [unrolled: 1-line block ×3, first 2 shown]
	ds_write_b128 v201, v[168:171]
	ds_write_b128 v201, v[172:175] offset:80
	ds_write_b128 v201, v[176:179] offset:16
	;; [unrolled: 1-line block ×9, first 2 shown]
	s_waitcnt lgkmcnt(0)
	s_barrier
	buffer_gl0_inv
	ds_read_b128 v[168:171], v198
	ds_read_b128 v[172:175], v198 offset:4800
	ds_read_b128 v[176:179], v198 offset:9600
	;; [unrolled: 1-line block ×5, first 2 shown]
	s_and_saveexec_b32 s1, vcc_lo
	s_cbranch_execz .LBB0_11
; %bb.10:
	ds_read_b128 v[156:159], v198 offset:2880
	ds_read_b128 v[160:163], v198 offset:7680
	;; [unrolled: 1-line block ×6, first 2 shown]
.LBB0_11:
	s_or_b32 exec_lo, exec_lo, s1
	s_waitcnt lgkmcnt(2)
	v_mul_f64 v[201:202], v[74:75], v[188:189]
	s_waitcnt lgkmcnt(0)
	v_mul_f64 v[206:207], v[78:79], v[192:193]
	v_mul_f64 v[208:209], v[66:67], v[184:185]
	;; [unrolled: 1-line block ×7, first 2 shown]
	s_mov_b32 s2, 0xe8584caa
	s_mov_b32 s3, 0xbfebb67a
	;; [unrolled: 1-line block ×4, first 2 shown]
	s_barrier
	buffer_gl0_inv
	v_fma_f64 v[190:191], v[72:73], v[190:191], -v[201:202]
	v_fma_f64 v[194:195], v[76:77], v[194:195], -v[206:207]
	v_mul_f64 v[201:202], v[42:43], v[160:161]
	v_mul_f64 v[206:207], v[66:67], v[186:187]
	v_fma_f64 v[74:75], v[64:65], v[186:187], -v[208:209]
	v_fma_f64 v[66:67], v[80:81], v[154:155], -v[210:211]
	v_mul_f64 v[154:155], v[54:55], v[174:175]
	v_mul_f64 v[186:187], v[62:63], v[178:179]
	;; [unrolled: 1-line block ×6, first 2 shown]
	v_fma_f64 v[72:73], v[72:73], v[188:189], v[214:215]
	v_fma_f64 v[76:77], v[76:77], v[192:193], v[78:79]
	v_fma_f64 v[78:79], v[52:53], v[174:175], -v[212:213]
	v_mul_f64 v[188:189], v[50:51], v[166:167]
	v_mul_f64 v[192:193], v[50:51], v[164:165]
	v_mul_f64 v[212:213], v[46:47], v[150:151]
	v_mul_f64 v[46:47], v[46:47], v[148:149]
	v_fma_f64 v[50:51], v[80:81], v[152:153], v[82:83]
	v_add_f64 v[174:175], v[190:191], v[194:195]
	v_fma_f64 v[58:59], v[40:41], v[162:163], -v[201:202]
	v_fma_f64 v[54:55], v[64:65], v[184:185], v[206:207]
	v_add_f64 v[64:65], v[74:75], v[66:67]
	v_fma_f64 v[154:155], v[52:53], v[172:173], v[154:155]
	v_fma_f64 v[80:81], v[60:61], v[176:177], v[186:187]
	v_fma_f64 v[82:83], v[60:61], v[178:179], -v[62:63]
	v_fma_f64 v[152:153], v[56:57], v[180:181], v[208:209]
	v_fma_f64 v[162:163], v[56:57], v[182:183], -v[210:211]
	v_fma_f64 v[60:61], v[40:41], v[160:161], v[42:43]
	v_add_f64 v[172:173], v[72:73], v[76:77]
	v_add_f64 v[176:177], v[72:73], -v[76:77]
	v_fma_f64 v[52:53], v[48:49], v[164:165], v[188:189]
	v_fma_f64 v[62:63], v[48:49], v[166:167], -v[192:193]
	v_fma_f64 v[48:49], v[44:45], v[148:149], v[212:213]
	v_fma_f64 v[56:57], v[44:45], v[150:151], -v[46:47]
	v_add_f64 v[148:149], v[190:191], -v[194:195]
	v_fma_f64 v[174:175], v[174:175], -0.5, v[78:79]
	v_add_f64 v[78:79], v[78:79], v[190:191]
	v_add_f64 v[40:41], v[54:55], v[50:51]
	v_add_f64 v[42:43], v[54:55], -v[50:51]
	v_fma_f64 v[44:45], v[64:65], -0.5, v[58:59]
	v_add_f64 v[72:73], v[154:155], v[72:73]
	v_add_f64 v[46:47], v[80:81], v[152:153]
	;; [unrolled: 1-line block ×3, first 2 shown]
	v_add_f64 v[178:179], v[82:83], -v[162:163]
	v_add_f64 v[82:83], v[170:171], v[82:83]
	v_fma_f64 v[150:151], v[172:173], -0.5, v[154:155]
	v_add_f64 v[166:167], v[52:53], v[48:49]
	v_add_f64 v[172:173], v[62:63], v[56:57]
	v_add_f64 v[154:155], v[62:63], -v[56:57]
	v_add_f64 v[180:181], v[52:53], -v[48:49]
	v_fma_f64 v[160:161], v[176:177], s[6:7], v[174:175]
	v_fma_f64 v[164:165], v[176:177], s[2:3], v[174:175]
	v_add_f64 v[174:175], v[74:75], -v[66:67]
	v_fma_f64 v[40:41], v[40:41], -0.5, v[60:61]
	v_fma_f64 v[176:177], v[42:43], s[6:7], v[44:45]
	v_fma_f64 v[42:43], v[42:43], s[2:3], v[44:45]
	v_add_f64 v[44:45], v[168:169], v[80:81]
	v_add_f64 v[80:81], v[80:81], -v[152:153]
	v_fma_f64 v[46:47], v[46:47], -0.5, v[168:169]
	v_fma_f64 v[64:65], v[64:65], -0.5, v[170:171]
	v_add_f64 v[186:187], v[72:73], v[76:77]
	v_add_f64 v[162:163], v[82:83], v[162:163]
	v_fma_f64 v[168:169], v[148:149], s[2:3], v[150:151]
	v_fma_f64 v[148:149], v[148:149], s[6:7], v[150:151]
	v_add_f64 v[188:189], v[78:79], v[194:195]
	v_fma_f64 v[166:167], v[166:167], -0.5, v[156:157]
	v_fma_f64 v[172:173], v[172:173], -0.5, v[158:159]
	v_mul_f64 v[150:151], v[160:161], s[2:3]
	v_mul_f64 v[170:171], v[164:165], s[2:3]
	v_mul_f64 v[164:165], v[164:165], -0.5
	v_fma_f64 v[182:183], v[174:175], s[2:3], v[40:41]
	v_fma_f64 v[40:41], v[174:175], s[6:7], v[40:41]
	v_mul_f64 v[174:175], v[176:177], s[2:3]
	v_mul_f64 v[184:185], v[42:43], s[2:3]
	v_mul_f64 v[176:177], v[176:177], 0.5
	v_mul_f64 v[42:43], v[42:43], -0.5
	v_mul_f64 v[160:161], v[160:161], 0.5
	v_add_f64 v[44:45], v[44:45], v[152:153]
	v_fma_f64 v[190:191], v[178:179], s[2:3], v[46:47]
	v_fma_f64 v[46:47], v[178:179], s[6:7], v[46:47]
	;; [unrolled: 1-line block ×8, first 2 shown]
	v_add_f64 v[154:155], v[162:163], v[188:189]
	v_add_f64 v[162:163], v[162:163], -v[188:189]
	v_fma_f64 v[194:195], v[168:169], 0.5, v[150:151]
	v_fma_f64 v[201:202], v[148:149], -0.5, v[170:171]
	v_fma_f64 v[208:209], v[148:149], s[6:7], v[164:165]
	v_fma_f64 v[76:77], v[182:183], 0.5, v[174:175]
	v_fma_f64 v[78:79], v[40:41], -0.5, v[184:185]
	v_fma_f64 v[148:149], v[182:183], s[6:7], v[176:177]
	v_fma_f64 v[150:151], v[40:41], s[6:7], v[42:43]
	;; [unrolled: 1-line block ×3, first 2 shown]
	v_add_f64 v[152:153], v[44:45], v[186:187]
	v_add_f64 v[160:161], v[44:45], -v[186:187]
	v_add_f64 v[164:165], v[190:191], v[194:195]
	v_add_f64 v[168:169], v[46:47], v[201:202]
	v_add_f64 v[176:177], v[46:47], -v[201:202]
	v_add_f64 v[170:171], v[192:193], v[208:209]
	v_add_f64 v[172:173], v[190:191], -v[194:195]
	v_add_f64 v[40:41], v[64:65], -v[76:77]
	;; [unrolled: 1-line block ×5, first 2 shown]
	v_add_f64 v[166:167], v[178:179], v[206:207]
	v_add_f64 v[174:175], v[178:179], -v[206:207]
	v_add_f64 v[178:179], v[192:193], -v[208:209]
	ds_write_b128 v204, v[152:155]
	ds_write_b128 v204, v[160:163] offset:480
	ds_write_b128 v204, v[164:167] offset:160
	;; [unrolled: 1-line block ×5, first 2 shown]
	s_and_saveexec_b32 s1, vcc_lo
	s_cbranch_execz .LBB0_13
; %bb.12:
	v_add_f64 v[62:63], v[158:159], v[62:63]
	v_add_f64 v[58:59], v[58:59], v[74:75]
	;; [unrolled: 1-line block ×12, first 2 shown]
	v_mad_u16 v64, v199, 60, v200
	v_mov_b32_e32 v65, 4
	v_lshlrev_b32_sdwa v64, v65, v64 dst_sel:DWORD dst_unused:UNUSED_PAD src0_sel:DWORD src1_sel:WORD_0
	v_add_f64 v[58:59], v[56:57], -v[60:61]
	v_add_f64 v[62:63], v[56:57], v[60:61]
	v_add_f64 v[60:61], v[66:67], v[74:75]
	v_add_f64 v[56:57], v[66:67], -v[74:75]
	ds_write_b128 v64, v[40:43] offset:640
	ds_write_b128 v64, v[52:55] offset:160
	;; [unrolled: 1-line block ×3, first 2 shown]
	ds_write_b128 v64, v[60:63]
	ds_write_b128 v64, v[56:59] offset:480
	ds_write_b128 v64, v[44:47] offset:800
.LBB0_13:
	s_or_b32 exec_lo, exec_lo, s1
	s_waitcnt lgkmcnt(0)
	s_barrier
	buffer_gl0_inv
	ds_read_b128 v[48:51], v198 offset:8640
	ds_read_b128 v[52:55], v198 offset:14400
	;; [unrolled: 1-line block ×9, first 2 shown]
	ds_read_b128 v[152:155], v198
	s_mov_b32 s12, 0x134454ff
	s_mov_b32 s13, 0xbfee6f0e
	;; [unrolled: 1-line block ×10, first 2 shown]
	s_waitcnt lgkmcnt(9)
	v_mul_f64 v[156:157], v[86:87], v[48:49]
	s_waitcnt lgkmcnt(8)
	v_mul_f64 v[158:159], v[94:95], v[52:53]
	;; [unrolled: 2-line block ×5, first 2 shown]
	v_mul_f64 v[86:87], v[86:87], v[50:51]
	v_mul_f64 v[94:95], v[94:95], v[54:55]
	;; [unrolled: 1-line block ×4, first 2 shown]
	s_waitcnt lgkmcnt(4)
	v_mul_f64 v[166:167], v[118:119], v[74:75]
	v_mul_f64 v[118:119], v[118:119], v[72:73]
	s_waitcnt lgkmcnt(3)
	v_mul_f64 v[168:169], v[110:111], v[78:79]
	v_mul_f64 v[110:111], v[110:111], v[76:77]
	s_waitcnt lgkmcnt(2)
	v_mul_f64 v[170:171], v[106:107], v[82:83]
	s_waitcnt lgkmcnt(1)
	v_mul_f64 v[172:173], v[102:103], v[148:149]
	v_mul_f64 v[106:107], v[106:107], v[80:81]
	;; [unrolled: 1-line block ×4, first 2 shown]
	s_mov_b32 s20, s2
	s_mov_b32 s22, s18
	s_waitcnt lgkmcnt(0)
	s_barrier
	v_fma_f64 v[50:51], v[84:85], v[50:51], -v[156:157]
	v_fma_f64 v[54:55], v[92:93], v[54:55], -v[158:159]
	;; [unrolled: 1-line block ×5, first 2 shown]
	v_fma_f64 v[48:49], v[84:85], v[48:49], v[86:87]
	v_fma_f64 v[52:53], v[92:93], v[52:53], v[94:95]
	;; [unrolled: 1-line block ×5, first 2 shown]
	v_fma_f64 v[74:75], v[116:117], v[74:75], -v[118:119]
	v_fma_f64 v[76:77], v[108:109], v[76:77], v[168:169]
	v_fma_f64 v[78:79], v[108:109], v[78:79], -v[110:111]
	v_fma_f64 v[80:81], v[104:105], v[80:81], v[170:171]
	v_fma_f64 v[84:85], v[100:101], v[150:151], -v[172:173]
	v_fma_f64 v[82:83], v[104:105], v[82:83], -v[106:107]
	v_fma_f64 v[86:87], v[100:101], v[148:149], v[102:103]
	v_fma_f64 v[64:65], v[68:69], v[64:65], v[70:71]
	buffer_gl0_inv
	v_add_f64 v[164:165], v[50:51], -v[54:55]
	v_add_f64 v[88:89], v[54:55], v[58:59]
	v_add_f64 v[90:91], v[50:51], v[62:63]
	v_add_f64 v[162:163], v[50:51], -v[62:63]
	v_add_f64 v[166:167], v[62:63], -v[58:59]
	;; [unrolled: 1-line block ×3, first 2 shown]
	v_add_f64 v[100:101], v[52:53], v[56:57]
	v_add_f64 v[102:103], v[48:49], v[60:61]
	v_add_f64 v[104:105], v[48:49], -v[60:61]
	v_add_f64 v[106:107], v[52:53], -v[56:57]
	v_add_f64 v[68:69], v[152:153], v[72:73]
	v_add_f64 v[96:97], v[72:73], -v[76:77]
	v_add_f64 v[70:71], v[76:77], v[80:81]
	v_add_f64 v[160:161], v[74:75], v[84:85]
	;; [unrolled: 1-line block ×3, first 2 shown]
	v_add_f64 v[98:99], v[86:87], -v[80:81]
	v_add_f64 v[108:109], v[72:73], v[86:87]
	v_add_f64 v[168:169], v[54:55], -v[50:51]
	v_add_f64 v[170:171], v[58:59], -v[62:63]
	v_add_f64 v[118:119], v[154:155], v[74:75]
	v_add_f64 v[50:51], v[66:67], v[50:51]
	v_add_f64 v[92:93], v[74:75], -v[84:85]
	v_add_f64 v[94:95], v[78:79], -v[82:83]
	v_fma_f64 v[88:89], v[88:89], -0.5, v[66:67]
	v_fma_f64 v[90:91], v[90:91], -0.5, v[66:67]
	v_add_f64 v[110:111], v[76:77], -v[72:73]
	v_add_f64 v[116:117], v[80:81], -v[86:87]
	;; [unrolled: 1-line block ×3, first 2 shown]
	v_fma_f64 v[100:101], v[100:101], -0.5, v[64:65]
	v_fma_f64 v[102:103], v[102:103], -0.5, v[64:65]
	v_add_f64 v[64:65], v[64:65], v[48:49]
	v_add_f64 v[150:151], v[76:77], -v[80:81]
	v_add_f64 v[180:181], v[48:49], -v[52:53]
	;; [unrolled: 1-line block ×3, first 2 shown]
	v_fma_f64 v[66:67], v[70:71], -0.5, v[152:153]
	v_add_f64 v[68:69], v[68:69], v[76:77]
	v_add_f64 v[48:49], v[52:53], -v[48:49]
	v_add_f64 v[76:77], v[96:97], v[98:99]
	v_fma_f64 v[70:71], v[108:109], -0.5, v[152:153]
	v_fma_f64 v[96:97], v[148:149], -0.5, v[154:155]
	;; [unrolled: 1-line block ×3, first 2 shown]
	v_add_f64 v[108:109], v[164:165], v[166:167]
	v_add_f64 v[184:185], v[56:57], -v[60:61]
	v_add_f64 v[148:149], v[168:169], v[170:171]
	v_add_f64 v[156:157], v[74:75], -v[78:79]
	v_fma_f64 v[176:177], v[104:105], s[6:7], v[88:89]
	v_fma_f64 v[178:179], v[106:107], s[12:13], v[90:91]
	;; [unrolled: 1-line block ×4, first 2 shown]
	v_add_f64 v[74:75], v[78:79], -v[74:75]
	v_fma_f64 v[152:153], v[162:163], s[12:13], v[100:101]
	v_fma_f64 v[154:155], v[172:173], s[6:7], v[102:103]
	;; [unrolled: 1-line block ×4, first 2 shown]
	v_add_f64 v[78:79], v[118:119], v[78:79]
	v_add_f64 v[52:53], v[64:65], v[52:53]
	;; [unrolled: 1-line block ×3, first 2 shown]
	v_add_f64 v[158:159], v[84:85], -v[82:83]
	v_add_f64 v[64:65], v[180:181], v[182:183]
	v_fma_f64 v[54:55], v[92:93], s[12:13], v[66:67]
	v_fma_f64 v[66:67], v[92:93], s[6:7], v[66:67]
	v_add_f64 v[174:175], v[82:83], -v[84:85]
	v_add_f64 v[68:69], v[68:69], v[80:81]
	v_add_f64 v[48:49], v[48:49], v[184:185]
	v_fma_f64 v[160:161], v[106:107], s[16:17], v[176:177]
	v_fma_f64 v[164:165], v[104:105], s[16:17], v[178:179]
	;; [unrolled: 1-line block ×4, first 2 shown]
	v_add_f64 v[104:105], v[110:111], v[116:117]
	v_fma_f64 v[106:107], v[94:95], s[6:7], v[70:71]
	v_fma_f64 v[70:71], v[94:95], s[12:13], v[70:71]
	v_fma_f64 v[110:111], v[72:73], s[6:7], v[96:97]
	v_fma_f64 v[96:97], v[72:73], s[12:13], v[96:97]
	v_fma_f64 v[118:119], v[172:173], s[14:15], v[152:153]
	v_fma_f64 v[152:153], v[162:163], s[14:15], v[154:155]
	v_fma_f64 v[116:117], v[150:151], s[12:13], v[98:99]
	v_fma_f64 v[98:99], v[150:151], s[6:7], v[98:99]
	v_fma_f64 v[100:101], v[172:173], s[16:17], v[100:101]
	v_fma_f64 v[102:103], v[162:163], s[16:17], v[102:103]
	v_add_f64 v[78:79], v[78:79], v[82:83]
	v_add_f64 v[52:53], v[52:53], v[56:57]
	;; [unrolled: 1-line block ×3, first 2 shown]
	v_fma_f64 v[54:55], v[94:95], s[14:15], v[54:55]
	v_fma_f64 v[56:57], v[94:95], s[16:17], v[66:67]
	v_add_f64 v[74:75], v[74:75], v[174:175]
	v_add_f64 v[68:69], v[68:69], v[86:87]
	v_fma_f64 v[154:155], v[108:109], s[2:3], v[160:161]
	v_fma_f64 v[160:161], v[148:149], s[2:3], v[164:165]
	;; [unrolled: 1-line block ×4, first 2 shown]
	v_add_f64 v[108:109], v[156:157], v[158:159]
	v_fma_f64 v[58:59], v[92:93], s[14:15], v[106:107]
	v_fma_f64 v[66:67], v[92:93], s[16:17], v[70:71]
	;; [unrolled: 1-line block ×10, first 2 shown]
	v_add_f64 v[78:79], v[78:79], v[84:85]
	v_add_f64 v[60:61], v[52:53], v[60:61]
	v_add_f64 v[50:51], v[50:51], v[62:63]
	v_fma_f64 v[84:85], v[76:77], s[2:3], v[54:55]
	v_fma_f64 v[86:87], v[76:77], s[2:3], v[56:57]
	v_mul_f64 v[96:97], v[154:155], s[14:15]
	v_mul_f64 v[106:107], v[154:155], s[18:19]
	;; [unrolled: 1-line block ×8, first 2 shown]
	v_fma_f64 v[118:119], v[108:109], s[2:3], v[70:71]
	v_fma_f64 v[116:117], v[104:105], s[2:3], v[58:59]
	;; [unrolled: 1-line block ×6, first 2 shown]
	v_add_f64 v[52:53], v[68:69], v[60:61]
	v_add_f64 v[54:55], v[78:79], v[50:51]
	v_add_f64 v[56:57], v[68:69], -v[60:61]
	v_add_f64 v[58:59], v[78:79], -v[50:51]
	v_fma_f64 v[76:77], v[92:93], s[18:19], v[96:97]
	v_fma_f64 v[92:93], v[92:93], s[16:17], v[106:107]
	;; [unrolled: 1-line block ×8, first 2 shown]
	v_add_f64 v[60:61], v[84:85], v[76:77]
	v_add_f64 v[62:63], v[118:119], v[92:93]
	;; [unrolled: 1-line block ×8, first 2 shown]
	v_add_f64 v[76:77], v[84:85], -v[76:77]
	v_add_f64 v[78:79], v[118:119], -v[92:93]
	v_add_f64 v[80:81], v[116:117], -v[80:81]
	v_add_f64 v[82:83], v[82:83], -v[94:95]
	v_add_f64 v[84:85], v[104:105], -v[96:97]
	v_add_f64 v[48:49], v[86:87], -v[98:99]
	v_add_f64 v[86:87], v[148:149], -v[90:91]
	v_add_f64 v[50:51], v[108:109], -v[88:89]
	ds_write_b128 v205, v[52:55]
	ds_write_b128 v205, v[56:59] offset:4800
	ds_write_b128 v205, v[60:63] offset:960
	;; [unrolled: 1-line block ×9, first 2 shown]
	s_waitcnt lgkmcnt(0)
	s_barrier
	buffer_gl0_inv
	ds_read_b128 v[60:63], v198
	ds_read_b128 v[52:55], v198 offset:2880
	ds_read_b128 v[76:79], v198 offset:19200
	;; [unrolled: 1-line block ×8, first 2 shown]
	s_and_saveexec_b32 s1, s0
	s_cbranch_execz .LBB0_15
; %bb.14:
	ds_read_b128 v[48:51], v198 offset:8640
	ds_read_b128 v[40:43], v198 offset:18240
	;; [unrolled: 1-line block ×3, first 2 shown]
.LBB0_15:
	s_or_b32 exec_lo, exec_lo, s1
	s_waitcnt lgkmcnt(4)
	v_mul_f64 v[88:89], v[126:127], v[86:87]
	v_mul_f64 v[90:91], v[130:131], v[78:79]
	v_mul_f64 v[92:93], v[126:127], v[84:85]
	v_mul_f64 v[94:95], v[130:131], v[76:77]
	s_waitcnt lgkmcnt(2)
	v_mul_f64 v[96:97], v[134:135], v[82:83]
	v_mul_f64 v[98:99], v[138:139], v[66:67]
	;; [unrolled: 1-line block ×4, first 2 shown]
	s_waitcnt lgkmcnt(1)
	v_mul_f64 v[104:105], v[142:143], v[70:71]
	s_waitcnt lgkmcnt(0)
	v_mul_f64 v[106:107], v[146:147], v[74:75]
	v_mul_f64 v[108:109], v[142:143], v[68:69]
	;; [unrolled: 1-line block ×3, first 2 shown]
	s_mov_b32 s2, 0xe8584caa
	s_mov_b32 s3, 0xbfebb67a
	s_mov_b32 s7, 0x3febb67a
	s_mov_b32 s6, s2
	v_fma_f64 v[84:85], v[124:125], v[84:85], v[88:89]
	v_fma_f64 v[76:77], v[128:129], v[76:77], v[90:91]
	v_fma_f64 v[86:87], v[124:125], v[86:87], -v[92:93]
	v_fma_f64 v[78:79], v[128:129], v[78:79], -v[94:95]
	v_fma_f64 v[80:81], v[132:133], v[80:81], v[96:97]
	v_fma_f64 v[64:65], v[136:137], v[64:65], v[98:99]
	v_fma_f64 v[82:83], v[132:133], v[82:83], -v[100:101]
	v_fma_f64 v[66:67], v[136:137], v[66:67], -v[102:103]
	;; [unrolled: 4-line block ×3, first 2 shown]
	v_add_f64 v[100:101], v[60:61], v[84:85]
	v_add_f64 v[88:89], v[84:85], v[76:77]
	v_add_f64 v[84:85], v[84:85], -v[76:77]
	v_add_f64 v[90:91], v[86:87], v[78:79]
	v_add_f64 v[102:103], v[86:87], -v[78:79]
	v_add_f64 v[92:93], v[80:81], v[64:65]
	v_add_f64 v[86:87], v[62:63], v[86:87]
	;; [unrolled: 1-line block ×9, first 2 shown]
	v_add_f64 v[82:83], v[82:83], -v[66:67]
	v_add_f64 v[80:81], v[80:81], -v[64:65]
	;; [unrolled: 1-line block ×4, first 2 shown]
	v_fma_f64 v[88:89], v[88:89], -0.5, v[60:61]
	v_fma_f64 v[90:91], v[90:91], -0.5, v[62:63]
	;; [unrolled: 1-line block ×3, first 2 shown]
	v_add_f64 v[52:53], v[100:101], v[76:77]
	v_fma_f64 v[94:95], v[94:95], -0.5, v[54:55]
	v_add_f64 v[54:55], v[86:87], v[78:79]
	v_fma_f64 v[96:97], v[96:97], -0.5, v[56:57]
	;; [unrolled: 2-line block ×3, first 2 shown]
	v_add_f64 v[58:59], v[106:107], v[66:67]
	v_add_f64 v[60:61], v[108:109], v[72:73]
	;; [unrolled: 1-line block ×3, first 2 shown]
	v_fma_f64 v[64:65], v[102:103], s[2:3], v[88:89]
	v_fma_f64 v[68:69], v[102:103], s[6:7], v[88:89]
	;; [unrolled: 1-line block ×12, first 2 shown]
	ds_write_b128 v198, v[52:55]
	ds_write_b128 v198, v[56:59] offset:2880
	ds_write_b128 v198, v[60:63] offset:5760
	;; [unrolled: 1-line block ×8, first 2 shown]
	s_and_saveexec_b32 s1, s0
	s_cbranch_execz .LBB0_17
; %bb.16:
	v_mul_f64 v[52:53], v[114:115], v[40:41]
	v_mul_f64 v[54:55], v[122:123], v[44:45]
	;; [unrolled: 1-line block ×4, first 2 shown]
	v_fma_f64 v[42:43], v[112:113], v[42:43], -v[52:53]
	v_fma_f64 v[46:47], v[120:121], v[46:47], -v[54:55]
	v_fma_f64 v[40:41], v[112:113], v[40:41], v[56:57]
	v_fma_f64 v[44:45], v[120:121], v[44:45], v[58:59]
	v_add_f64 v[58:59], v[50:51], v[42:43]
	v_add_f64 v[52:53], v[42:43], v[46:47]
	;; [unrolled: 1-line block ×3, first 2 shown]
	v_add_f64 v[56:57], v[40:41], -v[44:45]
	v_add_f64 v[40:41], v[48:49], v[40:41]
	v_fma_f64 v[50:51], v[52:53], -0.5, v[50:51]
	v_add_f64 v[52:53], v[42:43], -v[46:47]
	v_fma_f64 v[54:55], v[54:55], -0.5, v[48:49]
	v_add_f64 v[42:43], v[58:59], v[46:47]
	v_add_f64 v[40:41], v[40:41], v[44:45]
	v_fma_f64 v[46:47], v[56:57], s[2:3], v[50:51]
	v_fma_f64 v[50:51], v[56:57], s[6:7], v[50:51]
	;; [unrolled: 1-line block ×4, first 2 shown]
	ds_write_b128 v198, v[40:43] offset:8640
	ds_write_b128 v198, v[48:51] offset:18240
	;; [unrolled: 1-line block ×3, first 2 shown]
.LBB0_17:
	s_or_b32 exec_lo, exec_lo, s1
	s_waitcnt lgkmcnt(0)
	s_barrier
	buffer_gl0_inv
	ds_read_b128 v[40:43], v198
	ds_read_b128 v[44:47], v198 offset:2880
	ds_read_b128 v[48:51], v198 offset:5760
	;; [unrolled: 1-line block ×3, first 2 shown]
	v_mad_u64_u32 v[80:81], null, s10, v196, 0
	v_mad_u64_u32 v[82:83], null, s8, v197, 0
	ds_read_b128 v[56:59], v198 offset:11520
	ds_read_b128 v[60:63], v198 offset:14400
	;; [unrolled: 1-line block ×6, first 2 shown]
	s_mov_b32 s0, 0x789abcdf
	s_mov_b32 s1, 0x3f423456
	s_mul_i32 s3, s9, 0xb40
	s_mul_hi_u32 s6, s8, 0xb40
	s_mul_i32 s2, s8, 0xb40
	v_mad_u64_u32 v[88:89], null, s11, v196, v[81:82]
	s_add_i32 s6, s6, s3
	s_waitcnt lgkmcnt(9)
	v_mul_f64 v[84:85], v[2:3], v[42:43]
	v_mul_f64 v[2:3], v[2:3], v[40:41]
	s_waitcnt lgkmcnt(8)
	v_mul_f64 v[86:87], v[38:39], v[46:47]
	v_mul_f64 v[38:39], v[38:39], v[44:45]
	s_waitcnt lgkmcnt(6)
	v_mul_f64 v[92:93], v[18:19], v[54:55]
	v_mov_b32_e32 v81, v88
	s_waitcnt lgkmcnt(2)
	v_mul_f64 v[94:95], v[26:27], v[70:71]
	v_mul_f64 v[26:27], v[26:27], v[68:69]
	s_waitcnt lgkmcnt(0)
	v_mul_f64 v[96:97], v[34:35], v[78:79]
	v_mul_f64 v[34:35], v[34:35], v[76:77]
	v_mad_u64_u32 v[89:90], null, s9, v197, v[83:84]
	v_fma_f64 v[40:41], v[0:1], v[40:41], v[84:85]
	v_fma_f64 v[2:3], v[0:1], v[42:43], -v[2:3]
	v_mul_f64 v[90:91], v[22:23], v[50:51]
	v_mul_f64 v[22:23], v[22:23], v[48:49]
	v_fma_f64 v[42:43], v[36:37], v[44:45], v[86:87]
	v_fma_f64 v[36:37], v[36:37], v[46:47], -v[38:39]
	v_mul_f64 v[38:39], v[18:19], v[52:53]
	v_mul_f64 v[46:47], v[6:7], v[62:63]
	;; [unrolled: 1-line block ×3, first 2 shown]
	v_mov_b32_e32 v83, v89
	v_lshlrev_b64 v[6:7], 4, v[80:81]
	v_mul_f64 v[44:45], v[10:11], v[58:59]
	v_mul_f64 v[10:11], v[10:11], v[56:57]
	;; [unrolled: 1-line block ×6, first 2 shown]
	v_lshlrev_b64 v[80:81], 4, v[82:83]
	v_add_co_u32 v6, vcc_lo, s4, v6
	v_add_co_ci_u32_e32 v7, vcc_lo, s5, v7, vcc_lo
	v_mul_f64 v[0:1], v[40:41], s[0:1]
	v_mul_f64 v[2:3], v[2:3], s[0:1]
	v_fma_f64 v[48:49], v[20:21], v[48:49], v[90:91]
	v_fma_f64 v[22:23], v[20:21], v[50:51], -v[22:23]
	v_mul_f64 v[18:19], v[42:43], s[0:1]
	v_mul_f64 v[20:21], v[36:37], s[0:1]
	v_fma_f64 v[36:37], v[16:17], v[52:53], v[92:93]
	v_fma_f64 v[16:17], v[16:17], v[54:55], -v[38:39]
	v_add_co_u32 v38, vcc_lo, v6, v80
	v_add_co_ci_u32_e32 v39, vcc_lo, v7, v81, vcc_lo
	v_fma_f64 v[42:43], v[8:9], v[56:57], v[44:45]
	v_add_co_u32 v40, vcc_lo, v38, s2
	v_add_co_ci_u32_e32 v41, vcc_lo, s6, v39, vcc_lo
	global_store_dwordx4 v[38:39], v[0:3], off
	global_store_dwordx4 v[40:41], v[18:21], off
	v_fma_f64 v[18:19], v[4:5], v[60:61], v[46:47]
	v_fma_f64 v[4:5], v[4:5], v[62:63], -v[84:85]
	v_fma_f64 v[44:45], v[8:9], v[58:59], -v[10:11]
	v_mul_f64 v[8:9], v[22:23], s[0:1]
	v_fma_f64 v[20:21], v[12:13], v[64:65], v[86:87]
	v_fma_f64 v[22:23], v[12:13], v[66:67], -v[14:15]
	v_mul_f64 v[0:1], v[36:37], s[0:1]
	v_fma_f64 v[36:37], v[24:25], v[68:69], v[94:95]
	v_fma_f64 v[24:25], v[24:25], v[70:71], -v[26:27]
	v_fma_f64 v[26:27], v[28:29], v[72:73], v[88:89]
	v_fma_f64 v[28:29], v[28:29], v[74:75], -v[30:31]
	;; [unrolled: 2-line block ×3, first 2 shown]
	v_add_co_u32 v50, vcc_lo, v40, s2
	v_add_co_ci_u32_e32 v51, vcc_lo, s6, v41, vcc_lo
	v_mul_f64 v[6:7], v[48:49], s[0:1]
	v_add_co_u32 v34, vcc_lo, v50, s2
	v_add_co_ci_u32_e32 v35, vcc_lo, s6, v51, vcc_lo
	v_mul_f64 v[2:3], v[16:17], s[0:1]
	;; [unrolled: 3-line block ×3, first 2 shown]
	v_add_co_u32 v4, vcc_lo, v38, s2
	v_mul_f64 v[10:11], v[42:43], s[0:1]
	v_mul_f64 v[12:13], v[44:45], s[0:1]
	;; [unrolled: 1-line block ×3, first 2 shown]
	v_add_co_ci_u32_e32 v5, vcc_lo, s6, v39, vcc_lo
	v_mul_f64 v[18:19], v[20:21], s[0:1]
	v_mul_f64 v[20:21], v[22:23], s[0:1]
	;; [unrolled: 1-line block ×8, first 2 shown]
	v_add_co_u32 v36, vcc_lo, v4, s2
	v_add_co_ci_u32_e32 v37, vcc_lo, s6, v5, vcc_lo
	global_store_dwordx4 v[50:51], v[6:9], off
	v_add_co_u32 v6, vcc_lo, v36, s2
	v_add_co_ci_u32_e32 v7, vcc_lo, s6, v37, vcc_lo
	global_store_dwordx4 v[34:35], v[0:3], off
	;; [unrolled: 3-line block ×4, first 2 shown]
	global_store_dwordx4 v[36:37], v[18:21], off
	global_store_dwordx4 v[6:7], v[22:25], off
	;; [unrolled: 1-line block ×4, first 2 shown]
.LBB0_18:
	s_endpgm
	.section	.rodata,"a",@progbits
	.p2align	6, 0x0
	.amdhsa_kernel bluestein_single_fwd_len1800_dim1_dp_op_CI_CI
		.amdhsa_group_segment_fixed_size 28800
		.amdhsa_private_segment_fixed_size 0
		.amdhsa_kernarg_size 104
		.amdhsa_user_sgpr_count 6
		.amdhsa_user_sgpr_private_segment_buffer 1
		.amdhsa_user_sgpr_dispatch_ptr 0
		.amdhsa_user_sgpr_queue_ptr 0
		.amdhsa_user_sgpr_kernarg_segment_ptr 1
		.amdhsa_user_sgpr_dispatch_id 0
		.amdhsa_user_sgpr_flat_scratch_init 0
		.amdhsa_user_sgpr_private_segment_size 0
		.amdhsa_wavefront_size32 1
		.amdhsa_uses_dynamic_stack 0
		.amdhsa_system_sgpr_private_segment_wavefront_offset 0
		.amdhsa_system_sgpr_workgroup_id_x 1
		.amdhsa_system_sgpr_workgroup_id_y 0
		.amdhsa_system_sgpr_workgroup_id_z 0
		.amdhsa_system_sgpr_workgroup_info 0
		.amdhsa_system_vgpr_workitem_id 0
		.amdhsa_next_free_vgpr 249
		.amdhsa_next_free_sgpr 24
		.amdhsa_reserve_vcc 1
		.amdhsa_reserve_flat_scratch 0
		.amdhsa_float_round_mode_32 0
		.amdhsa_float_round_mode_16_64 0
		.amdhsa_float_denorm_mode_32 3
		.amdhsa_float_denorm_mode_16_64 3
		.amdhsa_dx10_clamp 1
		.amdhsa_ieee_mode 1
		.amdhsa_fp16_overflow 0
		.amdhsa_workgroup_processor_mode 1
		.amdhsa_memory_ordered 1
		.amdhsa_forward_progress 0
		.amdhsa_shared_vgpr_count 0
		.amdhsa_exception_fp_ieee_invalid_op 0
		.amdhsa_exception_fp_denorm_src 0
		.amdhsa_exception_fp_ieee_div_zero 0
		.amdhsa_exception_fp_ieee_overflow 0
		.amdhsa_exception_fp_ieee_underflow 0
		.amdhsa_exception_fp_ieee_inexact 0
		.amdhsa_exception_int_div_zero 0
	.end_amdhsa_kernel
	.text
.Lfunc_end0:
	.size	bluestein_single_fwd_len1800_dim1_dp_op_CI_CI, .Lfunc_end0-bluestein_single_fwd_len1800_dim1_dp_op_CI_CI
                                        ; -- End function
	.section	.AMDGPU.csdata,"",@progbits
; Kernel info:
; codeLenInByte = 14916
; NumSgprs: 26
; NumVgprs: 249
; ScratchSize: 0
; MemoryBound: 0
; FloatMode: 240
; IeeeMode: 1
; LDSByteSize: 28800 bytes/workgroup (compile time only)
; SGPRBlocks: 3
; VGPRBlocks: 31
; NumSGPRsForWavesPerEU: 26
; NumVGPRsForWavesPerEU: 249
; Occupancy: 4
; WaveLimiterHint : 1
; COMPUTE_PGM_RSRC2:SCRATCH_EN: 0
; COMPUTE_PGM_RSRC2:USER_SGPR: 6
; COMPUTE_PGM_RSRC2:TRAP_HANDLER: 0
; COMPUTE_PGM_RSRC2:TGID_X_EN: 1
; COMPUTE_PGM_RSRC2:TGID_Y_EN: 0
; COMPUTE_PGM_RSRC2:TGID_Z_EN: 0
; COMPUTE_PGM_RSRC2:TIDIG_COMP_CNT: 0
	.text
	.p2alignl 6, 3214868480
	.fill 48, 4, 3214868480
	.type	__hip_cuid_6a52e115e9b303f4,@object ; @__hip_cuid_6a52e115e9b303f4
	.section	.bss,"aw",@nobits
	.globl	__hip_cuid_6a52e115e9b303f4
__hip_cuid_6a52e115e9b303f4:
	.byte	0                               ; 0x0
	.size	__hip_cuid_6a52e115e9b303f4, 1

	.ident	"AMD clang version 19.0.0git (https://github.com/RadeonOpenCompute/llvm-project roc-6.4.0 25133 c7fe45cf4b819c5991fe208aaa96edf142730f1d)"
	.section	".note.GNU-stack","",@progbits
	.addrsig
	.addrsig_sym __hip_cuid_6a52e115e9b303f4
	.amdgpu_metadata
---
amdhsa.kernels:
  - .args:
      - .actual_access:  read_only
        .address_space:  global
        .offset:         0
        .size:           8
        .value_kind:     global_buffer
      - .actual_access:  read_only
        .address_space:  global
        .offset:         8
        .size:           8
        .value_kind:     global_buffer
      - .actual_access:  read_only
        .address_space:  global
        .offset:         16
        .size:           8
        .value_kind:     global_buffer
      - .actual_access:  read_only
        .address_space:  global
        .offset:         24
        .size:           8
        .value_kind:     global_buffer
      - .actual_access:  read_only
        .address_space:  global
        .offset:         32
        .size:           8
        .value_kind:     global_buffer
      - .offset:         40
        .size:           8
        .value_kind:     by_value
      - .address_space:  global
        .offset:         48
        .size:           8
        .value_kind:     global_buffer
      - .address_space:  global
        .offset:         56
        .size:           8
        .value_kind:     global_buffer
      - .address_space:  global
        .offset:         64
        .size:           8
        .value_kind:     global_buffer
      - .address_space:  global
        .offset:         72
        .size:           8
        .value_kind:     global_buffer
      - .offset:         80
        .size:           4
        .value_kind:     by_value
      - .address_space:  global
        .offset:         88
        .size:           8
        .value_kind:     global_buffer
      - .address_space:  global
        .offset:         96
        .size:           8
        .value_kind:     global_buffer
    .group_segment_fixed_size: 28800
    .kernarg_segment_align: 8
    .kernarg_segment_size: 104
    .language:       OpenCL C
    .language_version:
      - 2
      - 0
    .max_flat_workgroup_size: 180
    .name:           bluestein_single_fwd_len1800_dim1_dp_op_CI_CI
    .private_segment_fixed_size: 0
    .sgpr_count:     26
    .sgpr_spill_count: 0
    .symbol:         bluestein_single_fwd_len1800_dim1_dp_op_CI_CI.kd
    .uniform_work_group_size: 1
    .uses_dynamic_stack: false
    .vgpr_count:     249
    .vgpr_spill_count: 0
    .wavefront_size: 32
    .workgroup_processor_mode: 1
amdhsa.target:   amdgcn-amd-amdhsa--gfx1030
amdhsa.version:
  - 1
  - 2
...

	.end_amdgpu_metadata
